;; amdgpu-corpus repo=ROCm/rocFFT kind=compiled arch=gfx1201 opt=O3
	.text
	.amdgcn_target "amdgcn-amd-amdhsa--gfx1201"
	.amdhsa_code_object_version 6
	.protected	bluestein_single_fwd_len1190_dim1_sp_op_CI_CI ; -- Begin function bluestein_single_fwd_len1190_dim1_sp_op_CI_CI
	.globl	bluestein_single_fwd_len1190_dim1_sp_op_CI_CI
	.p2align	8
	.type	bluestein_single_fwd_len1190_dim1_sp_op_CI_CI,@function
bluestein_single_fwd_len1190_dim1_sp_op_CI_CI: ; @bluestein_single_fwd_len1190_dim1_sp_op_CI_CI
; %bb.0:
	s_load_b128 s[8:11], s[0:1], 0x28
	v_mul_u32_u24_e32 v1, 0x304, v0
	s_mov_b32 s2, exec_lo
	s_delay_alu instid0(VALU_DEP_1) | instskip(NEXT) | instid1(VALU_DEP_1)
	v_lshrrev_b32_e32 v1, 16, v1
	v_mad_co_u64_u32 v[80:81], null, ttmp9, 3, v[1:2]
	v_mov_b32_e32 v81, 0
                                        ; kill: def $vgpr2 killed $sgpr0 killed $exec
	s_wait_kmcnt 0x0
	s_delay_alu instid0(VALU_DEP_1)
	v_cmpx_gt_u64_e64 s[8:9], v[80:81]
	s_cbranch_execz .LBB0_23
; %bb.1:
	v_mul_hi_u32 v2, 0xaaaaaaab, v80
	s_clause 0x1
	s_load_b64 s[8:9], s[0:1], 0x0
	s_load_b64 s[12:13], s[0:1], 0x38
	v_mul_lo_u16 v1, 0x55, v1
	s_delay_alu instid0(VALU_DEP_1) | instskip(NEXT) | instid1(VALU_DEP_3)
	v_sub_nc_u16 v0, v0, v1
	v_lshrrev_b32_e32 v2, 1, v2
	s_delay_alu instid0(VALU_DEP_2) | instskip(NEXT) | instid1(VALU_DEP_2)
	v_and_b32_e32 v116, 0xffff, v0
	v_lshl_add_u32 v2, v2, 1, v2
	v_cmp_gt_u16_e32 vcc_lo, 0x46, v0
	s_delay_alu instid0(VALU_DEP_3) | instskip(NEXT) | instid1(VALU_DEP_3)
	v_lshlrev_b32_e32 v115, 3, v116
	v_sub_nc_u32_e32 v1, v80, v2
	s_delay_alu instid0(VALU_DEP_1) | instskip(NEXT) | instid1(VALU_DEP_1)
	v_mul_u32_u24_e32 v58, 0x4a6, v1
	v_lshlrev_b32_e32 v117, 3, v58
	s_and_saveexec_b32 s3, vcc_lo
	s_cbranch_execz .LBB0_3
; %bb.2:
	s_load_b64 s[4:5], s[0:1], 0x18
	s_delay_alu instid0(VALU_DEP_1) | instskip(SKIP_1) | instid1(VALU_DEP_2)
	v_add_nc_u32_e32 v71, v117, v115
	v_lshl_add_u32 v72, v116, 3, v117
	v_add_nc_u32_e32 v74, 0x800, v71
	s_wait_kmcnt 0x0
	s_load_b128 s[4:7], s[4:5], 0x0
	s_wait_kmcnt 0x0
	v_mad_co_u64_u32 v[0:1], null, s6, v80, 0
	v_mad_co_u64_u32 v[2:3], null, s4, v116, 0
	s_delay_alu instid0(VALU_DEP_1) | instskip(NEXT) | instid1(VALU_DEP_1)
	v_mad_co_u64_u32 v[4:5], null, s7, v80, v[1:2]
	v_mad_co_u64_u32 v[5:6], null, s5, v116, v[3:4]
	v_mov_b32_e32 v1, v4
	s_mul_u64 s[4:5], s[4:5], 0x230
	s_delay_alu instid0(VALU_DEP_1) | instskip(NEXT) | instid1(VALU_DEP_3)
	v_lshlrev_b64_e32 v[0:1], 3, v[0:1]
	v_mov_b32_e32 v3, v5
	s_clause 0x3
	global_load_b64 v[4:5], v115, s[8:9]
	global_load_b64 v[6:7], v115, s[8:9] offset:560
	global_load_b64 v[8:9], v115, s[8:9] offset:1120
	global_load_b64 v[10:11], v115, s[8:9] offset:1680
	v_add_co_u32 v18, s2, s10, v0
	v_lshlrev_b64_e32 v[2:3], 3, v[2:3]
	v_add_co_ci_u32_e64 v19, s2, s11, v1, s2
	s_clause 0xa
	global_load_b64 v[0:1], v115, s[8:9] offset:2240
	global_load_b64 v[12:13], v115, s[8:9] offset:2800
	;; [unrolled: 1-line block ×11, first 2 shown]
	v_add_co_u32 v2, s2, v18, v2
	s_wait_alu 0xf1ff
	v_add_co_ci_u32_e64 v3, s2, v19, v3, s2
	s_wait_alu 0xfffe
	s_delay_alu instid0(VALU_DEP_2) | instskip(SKIP_1) | instid1(VALU_DEP_2)
	v_add_co_u32 v18, s2, v2, s4
	s_wait_alu 0xf1ff
	v_add_co_ci_u32_e64 v19, s2, s5, v3, s2
	global_load_b64 v[2:3], v[2:3], off
	v_add_co_u32 v28, s2, v18, s4
	s_wait_alu 0xf1ff
	v_add_co_ci_u32_e64 v29, s2, s5, v19, s2
	s_delay_alu instid0(VALU_DEP_2) | instskip(SKIP_1) | instid1(VALU_DEP_2)
	v_add_co_u32 v36, s2, v28, s4
	s_wait_alu 0xf1ff
	v_add_co_ci_u32_e64 v37, s2, s5, v29, s2
	s_delay_alu instid0(VALU_DEP_2) | instskip(SKIP_1) | instid1(VALU_DEP_2)
	v_add_co_u32 v38, s2, v36, s4
	s_wait_alu 0xf1ff
	v_add_co_ci_u32_e64 v39, s2, s5, v37, s2
	s_clause 0x2
	global_load_b64 v[18:19], v[18:19], off
	global_load_b64 v[28:29], v[28:29], off
	;; [unrolled: 1-line block ×3, first 2 shown]
	v_add_co_u32 v40, s2, v38, s4
	s_wait_alu 0xf1ff
	v_add_co_ci_u32_e64 v41, s2, s5, v39, s2
	global_load_b64 v[38:39], v[38:39], off
	v_add_co_u32 v42, s2, v40, s4
	s_wait_alu 0xf1ff
	v_add_co_ci_u32_e64 v43, s2, s5, v41, s2
	global_load_b64 v[40:41], v[40:41], off
	v_add_co_u32 v44, s2, v42, s4
	s_wait_alu 0xf1ff
	v_add_co_ci_u32_e64 v45, s2, s5, v43, s2
	global_load_b64 v[42:43], v[42:43], off
	v_add_co_u32 v46, s2, v44, s4
	s_wait_alu 0xf1ff
	v_add_co_ci_u32_e64 v47, s2, s5, v45, s2
	global_load_b64 v[44:45], v[44:45], off
	v_add_co_u32 v48, s2, v46, s4
	s_wait_alu 0xf1ff
	v_add_co_ci_u32_e64 v49, s2, s5, v47, s2
	global_load_b64 v[46:47], v[46:47], off
	v_add_co_u32 v50, s2, v48, s4
	s_wait_alu 0xf1ff
	v_add_co_ci_u32_e64 v51, s2, s5, v49, s2
	global_load_b64 v[48:49], v[48:49], off
	v_add_co_u32 v52, s2, v50, s4
	s_wait_alu 0xf1ff
	v_add_co_ci_u32_e64 v53, s2, s5, v51, s2
	global_load_b64 v[50:51], v[50:51], off
	v_add_co_u32 v54, s2, v52, s4
	s_wait_alu 0xf1ff
	v_add_co_ci_u32_e64 v55, s2, s5, v53, s2
	global_load_b64 v[52:53], v[52:53], off
	v_add_co_u32 v56, s2, v54, s4
	s_wait_alu 0xf1ff
	v_add_co_ci_u32_e64 v57, s2, s5, v55, s2
	global_load_b64 v[54:55], v[54:55], off
	v_add_co_u32 v59, s2, v56, s4
	s_wait_alu 0xf1ff
	v_add_co_ci_u32_e64 v60, s2, s5, v57, s2
	global_load_b64 v[56:57], v[56:57], off
	v_add_co_u32 v61, s2, v59, s4
	s_wait_alu 0xf1ff
	v_add_co_ci_u32_e64 v62, s2, s5, v60, s2
	global_load_b64 v[59:60], v[59:60], off
	v_add_co_u32 v63, s2, v61, s4
	s_wait_alu 0xf1ff
	v_add_co_ci_u32_e64 v64, s2, s5, v62, s2
	global_load_b64 v[65:66], v115, s[8:9] offset:8400
	global_load_b64 v[61:62], v[61:62], off
	global_load_b64 v[67:68], v115, s[8:9] offset:8960
	global_load_b64 v[63:64], v[63:64], off
	s_wait_loadcnt 0x12
	v_mul_f32_e32 v69, v3, v5
	v_mul_f32_e32 v5, v2, v5
	s_delay_alu instid0(VALU_DEP_2) | instskip(NEXT) | instid1(VALU_DEP_2)
	v_fmac_f32_e32 v69, v2, v4
	v_fma_f32 v70, v3, v4, -v5
	s_wait_loadcnt 0x11
	v_mul_f32_e32 v2, v19, v7
	s_wait_loadcnt 0x10
	v_dual_mul_f32 v3, v18, v7 :: v_dual_mul_f32 v4, v29, v9
	v_mul_f32_e32 v5, v28, v9
	s_wait_loadcnt 0xf
	v_dual_mul_f32 v7, v36, v11 :: v_dual_fmac_f32 v2, v18, v6
	v_add_nc_u32_e32 v73, 0x400, v71
	v_dual_fmac_f32 v4, v28, v8 :: v_dual_add_nc_u32 v75, 0xc00, v71
	s_wait_loadcnt 0xe
	v_mul_f32_e32 v9, v39, v1
	v_fma_f32 v5, v29, v8, -v5
	v_mul_f32_e32 v1, v38, v1
	s_wait_loadcnt 0xd
	v_mul_f32_e32 v8, v40, v13
	v_fma_f32 v3, v19, v6, -v3
	v_mul_f32_e32 v6, v37, v11
	v_fma_f32 v7, v37, v10, -v7
	v_fmac_f32_e32 v9, v38, v0
	v_add_nc_u32_e32 v77, 0x1800, v71
	v_add_nc_u32_e32 v76, 0x1000, v71
	v_fmac_f32_e32 v6, v36, v10
	v_fma_f32 v10, v39, v0, -v1
	ds_store_b64 v72, v[69:70]
	s_wait_loadcnt 0xb
	v_mul_f32_e32 v0, v45, v17
	ds_store_2addr_b64 v71, v[2:3], v[4:5] offset0:70 offset1:140
	ds_store_2addr_b64 v73, v[6:7], v[9:10] offset0:82 offset1:152
	s_wait_loadcnt 0xa
	v_mul_f32_e32 v2, v47, v21
	v_mul_f32_e32 v11, v41, v13
	v_dual_mul_f32 v3, v46, v21 :: v_dual_fmac_f32 v0, v44, v16
	s_delay_alu instid0(VALU_DEP_3) | instskip(NEXT) | instid1(VALU_DEP_3)
	v_fmac_f32_e32 v2, v46, v20
	v_fmac_f32_e32 v11, v40, v12
	v_fma_f32 v12, v41, v12, -v8
	s_wait_loadcnt 0x9
	v_mul_f32_e32 v4, v49, v23
	s_wait_loadcnt 0x8
	v_dual_mul_f32 v5, v48, v23 :: v_dual_mul_f32 v6, v51, v25
	s_delay_alu instid0(VALU_DEP_2) | instskip(NEXT) | instid1(VALU_DEP_2)
	v_dual_mul_f32 v13, v43, v15 :: v_dual_fmac_f32 v4, v48, v22
	v_fmac_f32_e32 v6, v50, v24
	s_wait_loadcnt 0x7
	v_mul_f32_e32 v8, v53, v27
	v_mul_f32_e32 v15, v42, v15
	s_wait_loadcnt 0x6
	v_dual_fmac_f32 v13, v42, v14 :: v_dual_mul_f32 v10, v55, v31
	s_delay_alu instid0(VALU_DEP_3) | instskip(NEXT) | instid1(VALU_DEP_3)
	v_fmac_f32_e32 v8, v52, v26
	v_fma_f32 v14, v43, v14, -v15
	s_delay_alu instid0(VALU_DEP_3)
	v_dual_mul_f32 v1, v44, v17 :: v_dual_fmac_f32 v10, v54, v30
	ds_store_2addr_b64 v74, v[11:12], v[13:14] offset0:94 offset1:164
	s_wait_loadcnt 0x5
	v_mul_f32_e32 v12, v57, v33
	v_mul_f32_e32 v7, v50, v25
	;; [unrolled: 1-line block ×3, first 2 shown]
	s_wait_loadcnt 0x4
	v_mul_f32_e32 v14, v60, v35
	v_mul_f32_e32 v9, v52, v27
	v_fma_f32 v1, v45, v16, -v1
	s_wait_loadcnt 0x2
	v_dual_mul_f32 v13, v56, v33 :: v_dual_mul_f32 v16, v62, v66
	s_wait_loadcnt 0x0
	v_dual_mul_f32 v15, v59, v35 :: v_dual_mul_f32 v18, v64, v68
	v_mul_f32_e32 v17, v61, v66
	v_mul_f32_e32 v19, v63, v68
	v_fma_f32 v3, v47, v20, -v3
	v_add_nc_u32_e32 v20, 0x2000, v71
	v_fma_f32 v5, v49, v22, -v5
	v_fmac_f32_e32 v12, v56, v32
	v_fma_f32 v7, v51, v24, -v7
	v_fma_f32 v11, v55, v30, -v11
	v_fmac_f32_e32 v14, v59, v34
	v_fma_f32 v9, v53, v26, -v9
	;; [unrolled: 3-line block ×3, first 2 shown]
	v_fmac_f32_e32 v18, v63, v67
	v_fma_f32 v17, v62, v65, -v17
	v_fma_f32 v19, v64, v67, -v19
	ds_store_2addr_b64 v75, v[0:1], v[2:3] offset0:106 offset1:176
	ds_store_2addr_b64 v76, v[4:5], v[6:7] offset0:118 offset1:188
	;; [unrolled: 1-line block ×5, first 2 shown]
.LBB0_3:
	s_or_b32 exec_lo, exec_lo, s3
	s_clause 0x1
	s_load_b64 s[4:5], s[0:1], 0x20
	s_load_b64 s[2:3], s[0:1], 0x8
	v_mov_b32_e32 v4, 0
	v_mov_b32_e32 v5, 0
	global_wb scope:SCOPE_SE
	s_wait_dscnt 0x0
	s_wait_kmcnt 0x0
	s_barrier_signal -1
	s_barrier_wait -1
	global_inv scope:SCOPE_SE
                                        ; implicit-def: $vgpr14
                                        ; implicit-def: $vgpr8
                                        ; implicit-def: $vgpr36
                                        ; implicit-def: $vgpr18
                                        ; implicit-def: $vgpr26
                                        ; implicit-def: $vgpr30
                                        ; implicit-def: $vgpr34
                                        ; implicit-def: $vgpr22
	s_and_saveexec_b32 s0, vcc_lo
	s_cbranch_execz .LBB0_5
; %bb.4:
	v_lshl_add_u32 v0, v58, 3, v115
	ds_load_2addr_b64 v[4:7], v0 offset1:70
	ds_load_2addr_b64 v[20:23], v0 offset0:140 offset1:210
	v_add_nc_u32_e32 v1, 0x800, v0
	v_add_nc_u32_e32 v2, 0x1000, v0
	v_add_nc_u32_e32 v3, 0x1400, v0
	v_add_nc_u32_e32 v8, 0x1800, v0
	v_add_nc_u32_e32 v9, 0x1c00, v0
	ds_load_2addr_b64 v[32:35], v1 offset0:24 offset1:94
	ds_load_2addr_b64 v[28:31], v1 offset0:164 offset1:234
	;; [unrolled: 1-line block ×6, first 2 shown]
	ds_load_b64 v[36:37], v0 offset:8960
.LBB0_5:
	s_wait_alu 0xfffe
	s_or_b32 exec_lo, exec_lo, s0
	s_wait_dscnt 0x0
	v_sub_f32_e32 v106, v6, v36
	v_dual_sub_f32 v96, v7, v37 :: v_dual_add_f32 v51, v37, v7
	v_add_f32_e32 v50, v36, v6
	v_dual_add_f32 v60, v15, v33 :: v_dual_add_f32 v63, v13, v35
	s_delay_alu instid0(VALU_DEP_3) | instskip(SKIP_2) | instid1(VALU_DEP_3)
	v_dual_mul_f32 v66, 0xbeb8f4ab, v106 :: v_dual_mul_f32 v61, 0xbeb8f4ab, v96
	v_sub_f32_e32 v130, v34, v12
	v_dual_sub_f32 v136, v24, v26 :: v_dual_sub_f32 v101, v21, v11
	v_fma_f32 v1, 0x3f6eb680, v51, -v66
	s_delay_alu instid0(VALU_DEP_4) | instskip(NEXT) | instid1(VALU_DEP_4)
	v_fmamk_f32 v0, v50, 0x3f6eb680, v61
	v_dual_mul_f32 v79, 0xbf763a35, v130 :: v_dual_add_f32 v82, v27, v25
	s_delay_alu instid0(VALU_DEP_4) | instskip(NEXT) | instid1(VALU_DEP_4)
	v_mul_f32_e32 v131, 0xbf06c442, v136
	v_add_f32_e32 v1, v1, v5
	v_dual_mul_f32 v75, 0xbf2c7751, v96 :: v_dual_mul_f32 v78, 0xbf2c7751, v106
	v_dual_mul_f32 v83, 0xbf65296c, v96 :: v_dual_mul_f32 v94, 0xbf65296c, v106
	s_delay_alu instid0(VALU_DEP_2) | instskip(NEXT) | instid1(VALU_DEP_3)
	v_dual_add_f32 v53, v11, v21 :: v_dual_fmamk_f32 v2, v50, 0x3f3d2fb0, v75
	v_fma_f32 v3, 0x3f3d2fb0, v51, -v78
	v_dual_add_f32 v0, v0, v4 :: v_dual_mul_f32 v81, 0xbf7ee86f, v101
	s_delay_alu instid0(VALU_DEP_4) | instskip(NEXT) | instid1(VALU_DEP_3)
	v_fma_f32 v39, 0x3ee437d1, v51, -v94
	v_dual_add_f32 v2, v2, v4 :: v_dual_add_f32 v3, v3, v5
	v_sub_f32_e32 v112, v20, v10
	v_fma_f32 v45, 0xbf59a7d5, v82, -v131
	s_delay_alu instid0(VALU_DEP_4)
	v_dual_add_f32 v39, v39, v5 :: v_dual_mul_f32 v124, 0x3eb8f4ab, v136
	global_wb scope:SCOPE_SE
	v_mul_f32_e32 v85, 0xbf7ee86f, v112
	s_barrier_signal -1
	s_barrier_wait -1
	global_inv scope:SCOPE_SE
	v_sub_f32_e32 v103, v23, v9
	v_fma_f32 v43, 0x3dbcf732, v53, -v85
	v_add_f32_e32 v52, v10, v20
	v_mul_f32_e32 v88, 0xbf4c4adb, v101
	s_delay_alu instid0(VALU_DEP_4) | instskip(NEXT) | instid1(VALU_DEP_4)
	v_dual_add_f32 v54, v8, v22 :: v_dual_mul_f32 v91, 0x3e3c28d5, v103
	v_dual_add_f32 v3, v43, v3 :: v_dual_mul_f32 v64, 0xbf2c7751, v101
	v_mul_f32_e32 v65, 0xbf2c7751, v112
	v_sub_f32_e32 v121, v22, v8
	v_mul_f32_e32 v67, 0xbf65296c, v103
	v_dual_fmamk_f32 v42, v52, 0x3dbcf732, v81 :: v_dual_add_f32 v55, v9, v23
	s_delay_alu instid0(VALU_DEP_4) | instskip(SKIP_3) | instid1(VALU_DEP_3)
	v_fma_f32 v41, 0x3f3d2fb0, v53, -v65
	v_fmamk_f32 v38, v50, 0x3ee437d1, v83
	v_fmamk_f32 v40, v52, 0x3f3d2fb0, v64
	v_dual_mul_f32 v104, 0xbf4c4adb, v112 :: v_dual_mul_f32 v89, 0xbf4c4adb, v121
	v_dual_add_f32 v1, v41, v1 :: v_dual_add_f32 v38, v38, v4
	v_add_f32_e32 v2, v42, v2
	s_delay_alu instid0(VALU_DEP_3)
	v_fma_f32 v41, 0xbf1a4643, v53, -v104
	v_dual_add_f32 v0, v40, v0 :: v_dual_mul_f32 v87, 0xbf4c4adb, v103
	v_dual_mul_f32 v108, 0x3e3c28d5, v121 :: v_dual_add_f32 v59, v14, v32
	v_sub_f32_e32 v110, v33, v15
	v_fma_f32 v42, 0xbf1a4643, v55, -v89
	v_dual_mul_f32 v68, 0xbf65296c, v121 :: v_dual_add_f32 v39, v41, v39
	v_sub_f32_e32 v127, v32, v14
	s_delay_alu instid0(VALU_DEP_3) | instskip(NEXT) | instid1(VALU_DEP_3)
	v_dual_mul_f32 v98, 0x3f763a35, v110 :: v_dual_add_f32 v3, v42, v3
	v_fma_f32 v41, 0x3ee437d1, v55, -v68
	v_fmamk_f32 v40, v52, 0xbf1a4643, v88
	s_delay_alu instid0(VALU_DEP_4) | instskip(NEXT) | instid1(VALU_DEP_4)
	v_dual_mul_f32 v74, 0xbf7ee86f, v127 :: v_dual_sub_f32 v119, v35, v13
	v_fmamk_f32 v43, v59, 0xbe8c1d8e, v98
	s_delay_alu instid0(VALU_DEP_3)
	v_dual_add_f32 v1, v41, v1 :: v_dual_add_f32 v38, v40, v38
	v_fmamk_f32 v41, v54, 0xbf7ba420, v91
	v_fmamk_f32 v40, v54, 0x3ee437d1, v67
	v_mul_f32_e32 v72, 0xbf7ee86f, v110
	v_mul_f32_e32 v93, 0xbe3c28d5, v110
	v_dual_mul_f32 v118, 0x3f763a35, v127 :: v_dual_sub_f32 v135, v28, v18
	s_delay_alu instid0(VALU_DEP_4)
	v_add_f32_e32 v0, v40, v0
	v_add_f32_e32 v38, v41, v38
	v_fma_f32 v41, 0x3dbcf732, v60, -v74
	v_fmamk_f32 v40, v54, 0xbf1a4643, v87
	v_dual_fmamk_f32 v42, v59, 0xbf7ba420, v93 :: v_dual_sub_f32 v125, v29, v19
	v_mul_f32_e32 v95, 0xbe3c28d5, v127
	s_delay_alu instid0(VALU_DEP_3) | instskip(SKIP_3) | instid1(VALU_DEP_4)
	v_dual_add_f32 v1, v41, v1 :: v_dual_add_f32 v2, v40, v2
	v_fma_f32 v40, 0xbf7ba420, v55, -v108
	v_fma_f32 v41, 0xbe8c1d8e, v63, -v79
	v_dual_add_f32 v62, v12, v34 :: v_dual_mul_f32 v107, 0x3f763a35, v125
	v_dual_add_f32 v2, v42, v2 :: v_dual_mul_f32 v105, 0x3f2c7751, v119
	s_delay_alu instid0(VALU_DEP_4) | instskip(NEXT) | instid1(VALU_DEP_4)
	v_dual_add_f32 v39, v40, v39 :: v_dual_fmamk_f32 v40, v59, 0x3dbcf732, v72
	v_dual_add_f32 v1, v41, v1 :: v_dual_mul_f32 v100, 0x3f06c442, v119
	v_dual_add_f32 v38, v43, v38 :: v_dual_add_f32 v69, v18, v28
	s_delay_alu instid0(VALU_DEP_3) | instskip(SKIP_1) | instid1(VALU_DEP_4)
	v_dual_add_f32 v0, v40, v0 :: v_dual_mul_f32 v77, 0xbf763a35, v119
	v_fma_f32 v40, 0xbf7ba420, v60, -v95
	v_dual_fmamk_f32 v42, v62, 0xbf59a7d5, v100 :: v_dual_sub_f32 v129, v31, v17
	v_mul_f32_e32 v109, 0x3f763a35, v135
	v_dual_mul_f32 v84, 0xbf4c4adb, v125 :: v_dual_add_f32 v73, v17, v31
	s_delay_alu instid0(VALU_DEP_4)
	v_add_f32_e32 v3, v40, v3
	v_fma_f32 v40, 0xbe8c1d8e, v60, -v118
	v_add_f32_e32 v2, v42, v2
	v_mul_f32_e32 v128, 0xbeb8f4ab, v135
	v_mul_f32_e32 v114, 0x3f65296c, v129
	v_dual_mul_f32 v90, 0xbf06c442, v129 :: v_dual_sub_f32 v133, v25, v27
	v_dual_add_f32 v39, v40, v39 :: v_dual_mul_f32 v102, 0x3f06c442, v130
	v_add_f32_e32 v70, v19, v29
	v_sub_f32_e32 v134, v30, v16
	v_mul_f32_e32 v122, 0xbf7ee86f, v129
	v_dual_add_f32 v76, v26, v24 :: v_dual_mul_f32 v113, 0x3eb8f4ab, v133
	v_fma_f32 v43, 0xbf59a7d5, v63, -v102
	v_fma_f32 v44, 0xbe8c1d8e, v70, -v109
	v_mul_f32_e32 v120, 0x3f65296c, v134
	v_add_f32_e32 v71, v16, v30
	s_delay_alu instid0(VALU_DEP_4)
	v_dual_mul_f32 v132, 0xbf7ee86f, v134 :: v_dual_add_f32 v3, v43, v3
	v_mul_f32_e32 v123, 0x3f2c7751, v130
	v_fmamk_f32 v40, v62, 0xbe8c1d8e, v77
	v_fmamk_f32 v41, v69, 0xbf1a4643, v84
	;; [unrolled: 1-line block ×3, first 2 shown]
	v_dual_add_f32 v3, v44, v3 :: v_dual_mul_f32 v126, 0xbf06c442, v133
	s_delay_alu instid0(VALU_DEP_4)
	v_add_f32_e32 v0, v40, v0
	v_fmamk_f32 v40, v62, 0x3f3d2fb0, v105
	v_mul_f32_e32 v111, 0xbeb8f4ab, v125
	v_mul_f32_e32 v97, 0xbe3c28d5, v133
	v_fmamk_f32 v44, v76, 0xbf59a7d5, v126
	v_add_f32_e32 v0, v41, v0
	v_add_f32_e32 v38, v40, v38
	v_fma_f32 v40, 0x3f3d2fb0, v63, -v123
	v_fma_f32 v41, 0x3f6eb680, v70, -v128
	v_mul_f32_e32 v99, 0xbe3c28d5, v136
	s_delay_alu instid0(VALU_DEP_3) | instskip(NEXT) | instid1(VALU_DEP_1)
	v_dual_add_f32 v39, v40, v39 :: v_dual_add_f32 v2, v43, v2
	v_add_f32_e32 v39, v41, v39
	v_fmamk_f32 v40, v69, 0x3f6eb680, v111
	s_delay_alu instid0(VALU_DEP_1) | instskip(SKIP_1) | instid1(VALU_DEP_2)
	v_dual_fmamk_f32 v41, v71, 0x3dbcf732, v122 :: v_dual_add_f32 v38, v40, v38
	v_fmamk_f32 v40, v71, 0x3ee437d1, v114
	v_dual_add_f32 v38, v41, v38 :: v_dual_fmamk_f32 v41, v76, 0x3f6eb680, v113
	s_delay_alu instid0(VALU_DEP_2) | instskip(SKIP_2) | instid1(VALU_DEP_4)
	v_add_f32_e32 v40, v40, v2
	v_fma_f32 v2, 0x3ee437d1, v73, -v120
	v_mul_f32_e32 v92, 0xbf06c442, v134
	v_add_f32_e32 v56, v44, v38
	s_delay_alu instid0(VALU_DEP_2) | instskip(SKIP_1) | instid1(VALU_DEP_1)
	v_fma_f32 v43, 0xbf59a7d5, v73, -v92
	v_mul_f32_e32 v86, 0xbf4c4adb, v135
	v_fma_f32 v42, 0xbf1a4643, v70, -v86
	s_delay_alu instid0(VALU_DEP_1) | instskip(NEXT) | instid1(VALU_DEP_1)
	v_dual_add_f32 v1, v42, v1 :: v_dual_fmamk_f32 v42, v71, 0xbf59a7d5, v90
	v_dual_add_f32 v1, v43, v1 :: v_dual_add_f32 v0, v42, v0
	v_fma_f32 v42, 0x3dbcf732, v73, -v132
	v_dual_add_f32 v43, v2, v3 :: v_dual_fmamk_f32 v2, v76, 0xbf7ba420, v97
	s_delay_alu instid0(VALU_DEP_2) | instskip(SKIP_1) | instid1(VALU_DEP_3)
	v_add_f32_e32 v39, v42, v39
	v_fma_f32 v42, 0x3f6eb680, v82, -v124
	v_add_f32_e32 v2, v2, v0
	v_fma_f32 v0, 0xbf7ba420, v82, -v99
	s_delay_alu instid0(VALU_DEP_4) | instskip(NEXT) | instid1(VALU_DEP_2)
	v_add_f32_e32 v57, v45, v39
	v_dual_add_f32 v3, v0, v1 :: v_dual_add_f32 v0, v41, v40
	v_add_f32_e32 v1, v42, v43
	s_and_saveexec_b32 s0, vcc_lo
	s_cbranch_execz .LBB0_7
; %bb.6:
	v_mul_f32_e32 v149, 0xbf763a35, v96
	v_mul_f32_e32 v150, 0xbe8c1d8e, v51
	;; [unrolled: 1-line block ×6, first 2 shown]
	v_fmamk_f32 v38, v106, 0x3f763a35, v150
	v_mul_f32_e32 v141, 0x3ee437d1, v60
	v_dual_mul_f32 v155, 0x3f6eb680, v55 :: v_dual_fmamk_f32 v44, v71, 0x3f6eb680, v151
	s_delay_alu instid0(VALU_DEP_3) | instskip(NEXT) | instid1(VALU_DEP_3)
	v_dual_mul_f32 v145, 0xbf65296c, v110 :: v_dual_add_f32 v38, v38, v5
	v_fmamk_f32 v41, v127, 0x3f65296c, v141
	v_fmamk_f32 v39, v112, 0xbf06c442, v148
	v_mul_f32_e32 v153, 0xbf1a4643, v51
	s_delay_alu instid0(VALU_DEP_4) | instskip(SKIP_1) | instid1(VALU_DEP_4)
	v_fmamk_f32 v43, v59, 0x3ee437d1, v145
	v_fmamk_f32 v40, v121, 0xbf2c7751, v142
	v_dual_mul_f32 v159, 0x3f763a35, v101 :: v_dual_add_f32 v38, v39, v38
	v_mul_f32_e32 v147, 0x3f06c442, v101
	v_dual_fmamk_f32 v39, v50, 0xbe8c1d8e, v149 :: v_dual_mul_f32 v154, 0xbe8c1d8e, v53
	v_dual_mul_f32 v164, 0x3ee437d1, v82 :: v_dual_mul_f32 v165, 0x3ee437d1, v53
	s_delay_alu instid0(VALU_DEP_4) | instskip(NEXT) | instid1(VALU_DEP_3)
	v_add_f32_e32 v38, v40, v38
	v_dual_fmamk_f32 v40, v52, 0xbf59a7d5, v147 :: v_dual_add_f32 v39, v39, v4
	s_delay_alu instid0(VALU_DEP_3) | instskip(SKIP_1) | instid1(VALU_DEP_4)
	v_fmamk_f32 v45, v136, 0xbf65296c, v164
	v_dual_mul_f32 v156, 0xbf59a7d5, v60 :: v_dual_mul_f32 v49, 0xbf59a7d5, v51
	v_dual_add_f32 v38, v41, v38 :: v_dual_fmamk_f32 v41, v54, 0x3f3d2fb0, v146
	s_delay_alu instid0(VALU_DEP_4) | instskip(SKIP_3) | instid1(VALU_DEP_4)
	v_dual_add_f32 v39, v40, v39 :: v_dual_mul_f32 v138, 0x3f6eb680, v73
	v_mul_f32_e32 v157, 0x3dbcf732, v63
	v_mul_f32_e32 v152, 0xbf4c4adb, v133
	v_dual_mul_f32 v183, 0x3f2c7751, v129 :: v_dual_mul_f32 v194, 0x3f2c7751, v110
	v_add_f32_e32 v39, v41, v39
	v_fmamk_f32 v41, v106, 0x3f4c4adb, v153
	v_mul_f32_e32 v140, 0xbf7ba420, v63
	v_mul_f32_e32 v158, 0x3f3d2fb0, v70
	v_dual_mul_f32 v174, 0x3f3d2fb0, v73 :: v_dual_fmamk_f32 v185, v71, 0x3f3d2fb0, v183
	v_add_f32_e32 v39, v43, v39
	s_delay_alu instid0(VALU_DEP_4) | instskip(SKIP_3) | instid1(VALU_DEP_4)
	v_dual_add_f32 v41, v41, v5 :: v_dual_fmamk_f32 v42, v130, 0x3e3c28d5, v140
	v_mul_f32_e32 v168, 0xbe3c28d5, v129
	v_mul_f32_e32 v48, 0xbf4c4adb, v96
	v_dual_mul_f32 v160, 0xbf7ba420, v73 :: v_dual_mul_f32 v171, 0xbf7ba420, v70
	v_dual_add_f32 v38, v42, v38 :: v_dual_mul_f32 v143, 0x3f7ee86f, v125
	v_mul_f32_e32 v139, 0x3dbcf732, v70
	v_fmamk_f32 v42, v134, 0x3eb8f4ab, v138
	v_fmamk_f32 v46, v71, 0xbf7ba420, v168
	v_mul_f32_e32 v161, 0xbeb8f4ab, v103
	v_mul_f32_e32 v162, 0xbf06c442, v110
	v_fmamk_f32 v40, v135, 0xbf7ee86f, v139
	v_mul_f32_e32 v167, 0x3dbcf732, v55
	v_mul_f32_e32 v163, 0x3f7ee86f, v119
	;; [unrolled: 1-line block ×3, first 2 shown]
	s_delay_alu instid0(VALU_DEP_4) | instskip(SKIP_3) | instid1(VALU_DEP_4)
	v_dual_mul_f32 v179, 0x3f6eb680, v53 :: v_dual_add_f32 v38, v40, v38
	v_mul_f32_e32 v166, 0xbf2c7751, v125
	v_mul_f32_e32 v186, 0xbf763a35, v133
	v_fma_f32 v149, 0xbe8c1d8e, v50, -v149
	v_dual_fmamk_f32 v181, v112, 0xbeb8f4ab, v179 :: v_dual_add_f32 v38, v42, v38
	v_fmamk_f32 v42, v112, 0xbf763a35, v154
	s_delay_alu instid0(VALU_DEP_4) | instskip(SKIP_2) | instid1(VALU_DEP_4)
	v_fmamk_f32 v192, v76, 0xbe8c1d8e, v186
	v_fmac_f32_e32 v153, 0xbf4c4adb, v106
	v_mul_f32_e32 v189, 0xbf1a4643, v63
	v_dual_mul_f32 v176, 0x3f4c4adb, v110 :: v_dual_add_f32 v41, v42, v41
	v_fmamk_f32 v42, v121, 0x3eb8f4ab, v155
	s_delay_alu instid0(VALU_DEP_4) | instskip(SKIP_2) | instid1(VALU_DEP_4)
	v_dual_mul_f32 v144, 0xbe3c28d5, v119 :: v_dual_add_f32 v153, v153, v5
	v_fmac_f32_e32 v148, 0x3f06c442, v112
	v_dual_add_f32 v149, v149, v4 :: v_dual_mul_f32 v110, 0x3eb8f4ab, v110
	v_add_f32_e32 v41, v42, v41
	s_delay_alu instid0(VALU_DEP_4)
	v_fmamk_f32 v40, v62, 0xbf7ba420, v144
	v_fmamk_f32 v42, v127, 0x3f06c442, v156
	v_mul_f32_e32 v169, 0xbf1a4643, v60
	v_fma_f32 v147, 0xbf59a7d5, v52, -v147
	v_fma_f32 v146, 0x3f3d2fb0, v54, -v146
	v_dual_add_f32 v39, v40, v39 :: v_dual_fmamk_f32 v40, v69, 0x3dbcf732, v143
	v_mul_f32_e32 v137, 0xbf1a4643, v82
	s_delay_alu instid0(VALU_DEP_4)
	v_add_f32_e32 v147, v147, v149
	v_mul_f32_e32 v180, 0xbe3c28d5, v125
	v_mul_f32_e32 v184, 0x3f3d2fb0, v60
	v_add_f32_e32 v40, v40, v39
	v_fmamk_f32 v43, v136, 0x3f4c4adb, v137
	v_mul_f32_e32 v195, 0x3ee437d1, v70
	v_fmac_f32_e32 v155, 0xbeb8f4ab, v121
	v_fmac_f32_e32 v141, 0xbf65296c, v127
	;; [unrolled: 1-line block ×3, first 2 shown]
	v_dual_add_f32 v39, v43, v38 :: v_dual_add_f32 v38, v44, v40
	v_add_f32_e32 v40, v42, v41
	v_fmamk_f32 v44, v76, 0xbf1a4643, v152
	v_fmamk_f32 v41, v130, 0xbf7ee86f, v157
	;; [unrolled: 1-line block ×3, first 2 shown]
	v_mul_f32_e32 v170, 0x3f6eb680, v63
	v_fmac_f32_e32 v156, 0xbf06c442, v127
	v_add_f32_e32 v38, v44, v38
	v_dual_add_f32 v40, v41, v40 :: v_dual_fmamk_f32 v41, v135, 0x3f2c7751, v158
	v_add_f32_e32 v42, v42, v4
	v_fmamk_f32 v44, v112, 0xbf65296c, v165
	v_fmac_f32_e32 v165, 0x3f65296c, v112
	v_fma_f32 v145, 0x3ee437d1, v59, -v145
	v_dual_add_f32 v40, v41, v40 :: v_dual_fmamk_f32 v41, v134, 0x3e3c28d5, v160
	v_fmac_f32_e32 v157, 0x3f7ee86f, v130
	v_fma_f32 v144, 0xbf7ba420, v62, -v144
	v_mul_f32_e32 v149, 0xbf59a7d5, v73
	s_delay_alu instid0(VALU_DEP_4) | instskip(SKIP_3) | instid1(VALU_DEP_4)
	v_dual_mul_f32 v191, 0xbf06c442, v103 :: v_dual_add_f32 v40, v41, v40
	v_fmamk_f32 v43, v52, 0xbe8c1d8e, v159
	v_mul_f32_e32 v182, 0xbf59a7d5, v55
	v_fma_f32 v159, 0xbe8c1d8e, v52, -v159
	v_fmamk_f32 v193, v54, 0xbf59a7d5, v191
	v_mul_f32_e32 v178, 0xbe8c1d8e, v82
	v_dual_add_f32 v42, v43, v42 :: v_dual_fmamk_f32 v43, v54, 0x3f6eb680, v161
	v_add_f32_e32 v146, v146, v147
	v_fmac_f32_e32 v140, 0xbe3c28d5, v130
	s_delay_alu instid0(VALU_DEP_4) | instskip(NEXT) | instid1(VALU_DEP_4)
	v_fmamk_f32 v190, v136, 0x3f763a35, v178
	v_dual_fmac_f32 v154, 0x3f763a35, v112 :: v_dual_add_f32 v41, v43, v42
	v_fmamk_f32 v43, v106, 0x3f06c442, v49
	v_fmamk_f32 v42, v59, 0xbf59a7d5, v162
	v_fmac_f32_e32 v49, 0xbf06c442, v106
	s_delay_alu instid0(VALU_DEP_4) | instskip(NEXT) | instid1(VALU_DEP_4)
	v_dual_add_f32 v153, v154, v153 :: v_dual_fmac_f32 v138, 0xbeb8f4ab, v134
	v_add_f32_e32 v43, v43, v5
	s_delay_alu instid0(VALU_DEP_4) | instskip(NEXT) | instid1(VALU_DEP_4)
	v_add_f32_e32 v41, v42, v41
	v_dual_add_f32 v49, v49, v5 :: v_dual_fmac_f32 v160, 0xbe3c28d5, v134
	s_delay_alu instid0(VALU_DEP_4) | instskip(NEXT) | instid1(VALU_DEP_4)
	v_add_f32_e32 v153, v155, v153
	v_dual_add_f32 v43, v44, v43 :: v_dual_fmamk_f32 v44, v121, 0x3f7ee86f, v167
	v_fmamk_f32 v42, v62, 0x3dbcf732, v163
	v_fmac_f32_e32 v150, 0xbf763a35, v106
	v_fmac_f32_e32 v164, 0x3f65296c, v136
	s_delay_alu instid0(VALU_DEP_4) | instskip(NEXT) | instid1(VALU_DEP_4)
	v_dual_add_f32 v6, v6, v4 :: v_dual_add_f32 v43, v44, v43
	v_dual_add_f32 v41, v42, v41 :: v_dual_fmamk_f32 v42, v69, 0x3f3d2fb0, v166
	v_fmamk_f32 v44, v127, 0xbf4c4adb, v169
	v_fmac_f32_e32 v169, 0x3f4c4adb, v127
	v_fmac_f32_e32 v158, 0xbf2c7751, v135
	v_add_f32_e32 v150, v150, v5
	v_dual_add_f32 v42, v42, v41 :: v_dual_add_f32 v41, v45, v40
	v_add_f32_e32 v6, v20, v6
	s_delay_alu instid0(VALU_DEP_3) | instskip(NEXT) | instid1(VALU_DEP_3)
	v_add_f32_e32 v148, v148, v150
	v_add_f32_e32 v40, v46, v42
	v_mul_f32_e32 v46, 0xbf06c442, v96
	v_add_f32_e32 v42, v44, v43
	v_mul_f32_e32 v150, 0xbe8c1d8e, v69
	v_add_f32_e32 v6, v22, v6
	s_delay_alu instid0(VALU_DEP_4) | instskip(SKIP_2) | instid1(VALU_DEP_4)
	v_fmamk_f32 v44, v50, 0xbf59a7d5, v46
	v_fmamk_f32 v43, v130, 0x3eb8f4ab, v170
	v_dual_fmac_f32 v170, 0xbeb8f4ab, v130 :: v_dual_add_f32 v49, v165, v49
	v_add_f32_e32 v6, v32, v6
	s_delay_alu instid0(VALU_DEP_4) | instskip(NEXT) | instid1(VALU_DEP_4)
	v_dual_add_f32 v44, v44, v4 :: v_dual_mul_f32 v173, 0x3f65296c, v101
	v_add_f32_e32 v42, v43, v42
	v_fmamk_f32 v43, v135, 0x3e3c28d5, v171
	v_fmac_f32_e32 v167, 0xbf7ee86f, v121
	v_fmac_f32_e32 v171, 0xbe3c28d5, v135
	v_dual_fmamk_f32 v45, v52, 0x3ee437d1, v173 :: v_dual_add_f32 v6, v34, v6
	s_delay_alu instid0(VALU_DEP_4) | instskip(NEXT) | instid1(VALU_DEP_2)
	v_dual_add_f32 v42, v43, v42 :: v_dual_fmamk_f32 v43, v134, 0xbf2c7751, v174
	v_dual_mul_f32 v175, 0xbf7ee86f, v103 :: v_dual_add_f32 v44, v45, v44
	v_dual_fmac_f32 v174, 0x3f2c7751, v134 :: v_dual_add_f32 v49, v167, v49
	s_delay_alu instid0(VALU_DEP_2) | instskip(SKIP_2) | instid1(VALU_DEP_4)
	v_dual_add_f32 v42, v43, v42 :: v_dual_fmamk_f32 v45, v54, 0x3dbcf732, v175
	v_fma_f32 v173, 0x3ee437d1, v52, -v173
	v_fma_f32 v175, 0x3dbcf732, v54, -v175
	v_add_f32_e32 v49, v169, v49
	v_mul_f32_e32 v169, 0xbf1a4643, v52
	v_dual_add_f32 v43, v45, v44 :: v_dual_fmamk_f32 v44, v59, 0xbf1a4643, v176
	s_delay_alu instid0(VALU_DEP_3) | instskip(NEXT) | instid1(VALU_DEP_2)
	v_dual_add_f32 v6, v28, v6 :: v_dual_add_f32 v49, v170, v49
	v_dual_mul_f32 v170, 0x3ee437d1, v54 :: v_dual_add_f32 v43, v44, v43
	v_fmamk_f32 v44, v62, 0x3f6eb680, v177
	v_dual_mul_f32 v188, 0x3eb8f4ab, v101 :: v_dual_fmac_f32 v179, 0x3eb8f4ab, v112
	s_delay_alu instid0(VALU_DEP_4) | instskip(NEXT) | instid1(VALU_DEP_3)
	v_dual_add_f32 v49, v171, v49 :: v_dual_mul_f32 v112, 0xbe3c28d5, v112
	v_dual_add_f32 v43, v44, v43 :: v_dual_fmamk_f32 v44, v69, 0xbf7ba420, v180
	v_add_f32_e32 v153, v156, v153
	s_delay_alu instid0(VALU_DEP_3) | instskip(NEXT) | instid1(VALU_DEP_3)
	v_dual_add_f32 v49, v174, v49 :: v_dual_mul_f32 v174, 0xbf7ba420, v54
	v_dual_mul_f32 v156, 0xbe8c1d8e, v62 :: v_dual_add_f32 v43, v44, v43
	s_delay_alu instid0(VALU_DEP_3) | instskip(SKIP_1) | instid1(VALU_DEP_3)
	v_dual_mul_f32 v44, 0xbe3c28d5, v96 :: v_dual_add_f32 v153, v157, v153
	v_mul_f32_e32 v96, 0xbf7ee86f, v96
	v_dual_add_f32 v6, v30, v6 :: v_dual_add_f32 v185, v185, v43
	s_delay_alu instid0(VALU_DEP_3)
	v_fmamk_f32 v187, v50, 0xbf7ba420, v44
	v_mul_f32_e32 v172, 0x3f65296c, v133
	v_fma_f32 v44, 0xbf7ba420, v50, -v44
	v_fma_f32 v168, 0xbf7ba420, v71, -v168
	v_add_f32_e32 v153, v158, v153
	v_add_f32_e32 v43, v187, v4
	v_fmamk_f32 v187, v52, 0x3f6eb680, v188
	v_add_f32_e32 v44, v44, v4
	s_delay_alu instid0(VALU_DEP_4) | instskip(NEXT) | instid1(VALU_DEP_3)
	v_dual_mul_f32 v158, 0x3f3d2fb0, v62 :: v_dual_add_f32 v153, v160, v153
	v_dual_mul_f32 v160, 0xbf1a4643, v69 :: v_dual_add_f32 v187, v187, v43
	v_dual_add_f32 v43, v190, v42 :: v_dual_add_f32 v42, v192, v185
	v_mul_f32_e32 v190, 0xbf4c4adb, v119
	v_mul_f32_e32 v119, 0xbf65296c, v119
	s_delay_alu instid0(VALU_DEP_4) | instskip(SKIP_4) | instid1(VALU_DEP_4)
	v_add_f32_e32 v185, v193, v187
	v_fmamk_f32 v187, v59, 0x3f3d2fb0, v194
	v_mul_f32_e32 v193, 0x3f65296c, v125
	v_fmac_f32_e32 v178, 0xbf763a35, v136
	v_sub_f32_e32 v88, v169, v88
	v_dual_add_f32 v6, v24, v6 :: v_dual_add_f32 v185, v187, v185
	v_fmamk_f32 v187, v62, 0xbf1a4643, v190
	s_delay_alu instid0(VALU_DEP_4) | instskip(SKIP_1) | instid1(VALU_DEP_3)
	v_add_f32_e32 v49, v178, v49
	v_fma_f32 v178, 0xbf1a4643, v50, -v48
	v_add_f32_e32 v185, v187, v185
	v_fmamk_f32 v187, v69, 0x3ee437d1, v193
	s_delay_alu instid0(VALU_DEP_1) | instskip(SKIP_4) | instid1(VALU_DEP_4)
	v_add_f32_e32 v185, v187, v185
	v_fma_f32 v187, 0x3f6eb680, v52, -v188
	v_fmamk_f32 v47, v76, 0x3ee437d1, v172
	v_fma_f32 v172, 0x3ee437d1, v76, -v172
	v_fmac_f32_e32 v142, 0x3f2c7751, v121
	v_add_f32_e32 v44, v187, v44
	s_delay_alu instid0(VALU_DEP_4) | instskip(NEXT) | instid1(VALU_DEP_3)
	v_dual_add_f32 v40, v47, v40 :: v_dual_mul_f32 v47, 0xbf7ba420, v51
	v_add_f32_e32 v142, v142, v148
	v_mul_f32_e32 v148, 0x3f6eb680, v69
	s_delay_alu instid0(VALU_DEP_3) | instskip(SKIP_1) | instid1(VALU_DEP_4)
	v_fmamk_f32 v45, v106, 0x3e3c28d5, v47
	v_fmac_f32_e32 v47, 0xbe3c28d5, v106
	v_dual_add_f32 v141, v141, v142 :: v_dual_mul_f32 v142, 0xbf59a7d5, v71
	v_mul_f32_e32 v165, 0x3f3d2fb0, v52
	s_delay_alu instid0(VALU_DEP_3) | instskip(NEXT) | instid1(VALU_DEP_3)
	v_dual_mul_f32 v106, 0xbf7ee86f, v106 :: v_dual_add_f32 v47, v47, v5
	v_dual_add_f32 v140, v140, v141 :: v_dual_mul_f32 v167, 0x3dbcf732, v52
	s_delay_alu instid0(VALU_DEP_2) | instskip(SKIP_1) | instid1(VALU_DEP_1)
	v_dual_sub_f32 v64, v165, v64 :: v_dual_add_f32 v47, v179, v47
	v_fma_f32 v179, 0xbf59a7d5, v54, -v191
	v_add_f32_e32 v44, v179, v44
	v_fma_f32 v179, 0x3f3d2fb0, v59, -v194
	s_delay_alu instid0(VALU_DEP_1) | instskip(SKIP_1) | instid1(VALU_DEP_2)
	v_dual_add_f32 v44, v179, v44 :: v_dual_add_f32 v45, v45, v5
	v_fma_f32 v179, 0xbf1a4643, v62, -v190
	v_add_f32_e32 v45, v181, v45
	v_fmamk_f32 v181, v121, 0x3f06c442, v182
	v_fmac_f32_e32 v182, 0xbf06c442, v121
	s_delay_alu instid0(VALU_DEP_4) | instskip(NEXT) | instid1(VALU_DEP_3)
	v_dual_mul_f32 v192, 0xbe8c1d8e, v73 :: v_dual_add_f32 v179, v179, v44
	v_add_f32_e32 v45, v181, v45
	s_delay_alu instid0(VALU_DEP_3) | instskip(SKIP_3) | instid1(VALU_DEP_3)
	v_add_f32_e32 v47, v182, v47
	v_fmamk_f32 v181, v127, 0xbf2c7751, v184
	v_fmac_f32_e32 v184, 0x3f2c7751, v127
	v_mul_f32_e32 v196, 0xbf763a35, v129
	v_dual_mul_f32 v182, 0x3dbcf732, v82 :: v_dual_add_f32 v45, v181, v45
	s_delay_alu instid0(VALU_DEP_3) | instskip(SKIP_1) | instid1(VALU_DEP_3)
	v_add_f32_e32 v47, v184, v47
	v_fmamk_f32 v181, v130, 0x3f4c4adb, v189
	v_fmamk_f32 v184, v136, 0xbf7ee86f, v182
	s_delay_alu instid0(VALU_DEP_2) | instskip(SKIP_3) | instid1(VALU_DEP_3)
	v_dual_fmac_f32 v182, 0x3f7ee86f, v136 :: v_dual_add_f32 v45, v181, v45
	v_fmamk_f32 v181, v135, 0xbf65296c, v195
	v_fmac_f32_e32 v195, 0x3f65296c, v135
	v_mul_f32_e32 v135, 0xbf06c442, v135
	v_add_f32_e32 v45, v181, v45
	v_fmamk_f32 v181, v134, 0x3f763a35, v192
	v_fmamk_f32 v188, v71, 0xbe8c1d8e, v196
	v_fmac_f32_e32 v192, 0xbf763a35, v134
	s_delay_alu instid0(VALU_DEP_3) | instskip(NEXT) | instid1(VALU_DEP_3)
	v_dual_mul_f32 v134, 0x3f4c4adb, v134 :: v_dual_add_f32 v45, v181, v45
	v_add_f32_e32 v181, v188, v185
	v_mul_f32_e32 v185, 0x3f7ee86f, v133
	s_delay_alu instid0(VALU_DEP_3) | instskip(NEXT) | instid1(VALU_DEP_2)
	v_dual_mul_f32 v188, 0x3f3d2fb0, v50 :: v_dual_add_f32 v45, v184, v45
	v_fmamk_f32 v187, v76, 0x3dbcf732, v185
	s_delay_alu instid0(VALU_DEP_1) | instskip(SKIP_2) | instid1(VALU_DEP_3)
	v_dual_sub_f32 v75, v188, v75 :: v_dual_add_f32 v44, v187, v181
	v_fmac_f32_e32 v189, 0xbf4c4adb, v130
	v_mul_f32_e32 v181, 0x3f6eb680, v50
	v_dual_mul_f32 v130, 0xbf65296c, v130 :: v_dual_add_f32 v75, v75, v4
	s_delay_alu instid0(VALU_DEP_3) | instskip(SKIP_1) | instid1(VALU_DEP_4)
	v_add_f32_e32 v47, v189, v47
	v_mul_f32_e32 v189, 0xbf7ba420, v59
	v_sub_f32_e32 v61, v181, v61
	s_delay_alu instid0(VALU_DEP_3) | instskip(NEXT) | instid1(VALU_DEP_2)
	v_add_f32_e32 v47, v195, v47
	v_add_f32_e32 v61, v61, v4
	s_delay_alu instid0(VALU_DEP_2) | instskip(NEXT) | instid1(VALU_DEP_2)
	v_add_f32_e32 v47, v192, v47
	v_add_f32_e32 v61, v64, v61
	s_delay_alu instid0(VALU_DEP_2) | instskip(SKIP_1) | instid1(VALU_DEP_1)
	v_add_f32_e32 v47, v182, v47
	v_fma_f32 v182, 0xbf59a7d5, v50, -v46
	v_add_f32_e32 v182, v182, v4
	s_delay_alu instid0(VALU_DEP_1) | instskip(NEXT) | instid1(VALU_DEP_1)
	v_dual_add_f32 v173, v173, v182 :: v_dual_mul_f32 v182, 0x3f3d2fb0, v53
	v_add_f32_e32 v173, v175, v173
	v_fma_f32 v175, 0xbf1a4643, v59, -v176
	s_delay_alu instid0(VALU_DEP_3) | instskip(NEXT) | instid1(VALU_DEP_2)
	v_dual_mul_f32 v176, 0x3dbcf732, v53 :: v_dual_add_f32 v65, v65, v182
	v_add_f32_e32 v173, v175, v173
	v_fma_f32 v175, 0x3f6eb680, v62, -v177
	s_delay_alu instid0(VALU_DEP_3) | instskip(NEXT) | instid1(VALU_DEP_2)
	v_add_f32_e32 v85, v85, v176
	v_add_f32_e32 v173, v175, v173
	v_fma_f32 v175, 0xbf7ba420, v69, -v180
	s_delay_alu instid0(VALU_DEP_1) | instskip(SKIP_1) | instid1(VALU_DEP_1)
	v_dual_mul_f32 v180, 0x3ee437d1, v55 :: v_dual_add_f32 v173, v175, v173
	v_fma_f32 v175, 0x3f3d2fb0, v71, -v183
	v_add_f32_e32 v173, v175, v173
	v_fma_f32 v175, 0xbe8c1d8e, v76, -v186
	v_mul_f32_e32 v186, 0xbf7ba420, v55
	s_delay_alu instid0(VALU_DEP_2) | instskip(SKIP_1) | instid1(VALU_DEP_3)
	v_dual_add_f32 v48, v175, v173 :: v_dual_add_f32 v175, v178, v4
	v_mul_f32_e32 v178, 0x3dbcf732, v60
	v_dual_add_f32 v108, v108, v186 :: v_dual_mul_f32 v173, 0x3dbcf732, v59
	s_delay_alu instid0(VALU_DEP_3) | instskip(SKIP_3) | instid1(VALU_DEP_3)
	v_add_f32_e32 v154, v159, v175
	v_fma_f32 v159, 0x3f6eb680, v54, -v161
	v_mul_f32_e32 v161, 0xbf7ba420, v60
	v_mul_f32_e32 v175, 0xbf1a4643, v70
	v_add_f32_e32 v154, v159, v154
	v_fma_f32 v184, 0x3ee437d1, v69, -v193
	v_fma_f32 v159, 0xbf59a7d5, v59, -v162
	v_mul_f32_e32 v162, 0xbe8c1d8e, v60
	v_add_f32_e32 v139, v139, v140
	v_mul_f32_e32 v177, 0xbf1a4643, v53
	v_add_f32_e32 v179, v184, v179
	v_fma_f32 v184, 0xbe8c1d8e, v71, -v196
	v_add_f32_e32 v154, v159, v154
	v_fma_f32 v159, 0x3dbcf732, v62, -v163
	v_add_f32_e32 v138, v138, v139
	v_add_f32_e32 v104, v104, v177
	v_add_f32_e32 v179, v184, v179
	v_fma_f32 v184, 0x3dbcf732, v76, -v185
	v_add_f32_e32 v154, v159, v154
	v_fma_f32 v159, 0x3f3d2fb0, v69, -v166
	v_dual_mul_f32 v187, 0x3f6eb680, v51 :: v_dual_add_f32 v140, v145, v146
	s_delay_alu instid0(VALU_DEP_4) | instskip(SKIP_1) | instid1(VALU_DEP_4)
	v_add_f32_e32 v46, v184, v179
	v_mul_f32_e32 v184, 0x3ee437d1, v51
	v_dual_add_f32 v154, v159, v154 :: v_dual_mul_f32 v159, 0x3f3d2fb0, v63
	s_delay_alu instid0(VALU_DEP_4) | instskip(NEXT) | instid1(VALU_DEP_3)
	v_dual_fmamk_f32 v146, v51, 0x3dbcf732, v106 :: v_dual_add_f32 v139, v144, v140
	v_dual_add_f32 v94, v94, v184 :: v_dual_mul_f32 v157, 0xbf59a7d5, v62
	v_fma_f32 v140, 0x3dbcf732, v69, -v143
	s_delay_alu instid0(VALU_DEP_3) | instskip(NEXT) | instid1(VALU_DEP_3)
	v_dual_add_f32 v143, v146, v5 :: v_dual_fmamk_f32 v144, v53, 0xbf7ba420, v112
	v_add_f32_e32 v94, v94, v5
	v_add_f32_e32 v168, v168, v154
	v_mul_f32_e32 v146, 0x3dbcf732, v73
	v_fmac_f32_e32 v137, 0xbf4c4adb, v136
	s_delay_alu instid0(VALU_DEP_4) | instskip(SKIP_2) | instid1(VALU_DEP_3)
	v_dual_mul_f32 v185, 0x3f3d2fb0, v51 :: v_dual_add_f32 v94, v104, v94
	v_dual_mul_f32 v141, 0x3ee437d1, v71 :: v_dual_add_f32 v154, v164, v153
	v_dual_add_f32 v153, v172, v168 :: v_dual_mul_f32 v168, 0x3f6eb680, v70
	v_add_f32_e32 v94, v108, v94
	v_dual_add_f32 v108, v118, v162 :: v_dual_mul_f32 v121, 0x3f763a35, v121
	v_dual_mul_f32 v118, 0x3f2c7751, v136 :: v_dual_add_f32 v143, v144, v143
	v_fma_f32 v136, 0x3ee437d1, v62, -v119
	s_delay_alu instid0(VALU_DEP_3) | instskip(NEXT) | instid1(VALU_DEP_4)
	v_dual_mul_f32 v127, 0x3eb8f4ab, v127 :: v_dual_add_f32 v94, v108, v94
	v_dual_mul_f32 v155, 0xbe8c1d8e, v59 :: v_dual_fmamk_f32 v144, v55, 0xbe8c1d8e, v121
	s_delay_alu instid0(VALU_DEP_4) | instskip(SKIP_3) | instid1(VALU_DEP_4)
	v_dual_add_f32 v108, v123, v159 :: v_dual_fmamk_f32 v123, v82, 0x3f3d2fb0, v118
	v_add_f32_e32 v139, v140, v139
	v_fma_f32 v140, 0x3f6eb680, v71, -v151
	v_mul_f32_e32 v171, 0xbf1a4643, v54
	v_dual_mul_f32 v151, 0xbf7ba420, v76 :: v_dual_add_f32 v108, v108, v94
	v_add_f32_e32 v128, v128, v168
	s_delay_alu instid0(VALU_DEP_4) | instskip(SKIP_2) | instid1(VALU_DEP_4)
	v_dual_add_f32 v139, v140, v139 :: v_dual_add_f32 v78, v78, v185
	v_add_f32_e32 v140, v144, v143
	v_fmamk_f32 v143, v60, 0x3f6eb680, v127
	v_dual_mul_f32 v179, 0x3ee437d1, v50 :: v_dual_add_f32 v108, v128, v108
	v_dual_add_f32 v128, v132, v146 :: v_dual_mul_f32 v183, 0xbf1a4643, v55
	v_add_f32_e32 v138, v137, v138
	s_delay_alu instid0(VALU_DEP_4) | instskip(SKIP_4) | instid1(VALU_DEP_4)
	v_add_f32_e32 v140, v143, v140
	v_fmamk_f32 v143, v63, 0x3ee437d1, v130
	v_fma_f32 v137, 0xbf1a4643, v76, -v152
	v_fma_f32 v152, 0x3dbcf732, v50, -v96
	v_mul_f32_e32 v184, 0xbf59a7d5, v82
	v_dual_mul_f32 v101, 0xbe3c28d5, v101 :: v_dual_add_f32 v140, v143, v140
	v_fmamk_f32 v143, v70, 0xbf59a7d5, v135
	v_dual_add_f32 v137, v137, v139 :: v_dual_add_f32 v108, v128, v108
	v_dual_mul_f32 v139, 0x3f6eb680, v76 :: v_dual_add_f32 v78, v78, v5
	v_sub_f32_e32 v83, v179, v83
	v_sub_f32_e32 v81, v167, v81
	v_dual_mul_f32 v163, 0xbe8c1d8e, v63 :: v_dual_add_f32 v140, v143, v140
	v_add_f32_e32 v143, v152, v4
	v_dual_mul_f32 v103, 0x3f763a35, v103 :: v_dual_add_f32 v78, v85, v78
	v_add_f32_e32 v128, v131, v184
	v_fma_f32 v152, 0xbf7ba420, v52, -v101
	v_add_f32_e32 v85, v89, v183
	v_add_f32_e32 v89, v66, v187
	;; [unrolled: 1-line block ×3, first 2 shown]
	v_fma_f32 v104, 0xbe8c1d8e, v54, -v103
	v_mul_f32_e32 v166, 0xbf59a7d5, v63
	v_mul_f32_e32 v144, 0xbf7ba420, v82
	s_delay_alu instid0(VALU_DEP_4)
	v_dual_add_f32 v78, v85, v78 :: v_dual_add_f32 v83, v88, v83
	v_sub_f32_e32 v88, v174, v91
	v_add_f32_e32 v143, v152, v143
	v_mul_f32_e32 v147, 0x3ee437d1, v73
	v_dual_add_f32 v85, v95, v161 :: v_dual_mul_f32 v164, 0xbe8c1d8e, v70
	v_mul_f32_e32 v172, 0x3f6eb680, v82
	s_delay_alu instid0(VALU_DEP_4) | instskip(SKIP_1) | instid1(VALU_DEP_4)
	v_add_f32_e32 v104, v104, v143
	v_fma_f32 v143, 0x3f6eb680, v59, -v110
	v_dual_mul_f32 v145, 0x3dbcf732, v71 :: v_dual_add_f32 v78, v85, v78
	v_add_f32_e32 v85, v102, v166
	s_delay_alu instid0(VALU_DEP_3) | instskip(SKIP_2) | instid1(VALU_DEP_4)
	v_dual_mul_f32 v125, 0xbf06c442, v125 :: v_dual_add_f32 v104, v143, v104
	v_fmac_f32_e32 v110, 0x3f6eb680, v59
	v_add_f32_e32 v75, v81, v75
	v_add_f32_e32 v78, v85, v78
	v_sub_f32_e32 v22, v173, v72
	v_add_f32_e32 v104, v136, v104
	v_fma_f32 v136, 0xbf59a7d5, v69, -v125
	v_fmac_f32_e32 v125, 0xbf59a7d5, v69
	v_add_f32_e32 v7, v7, v5
	v_mul_f32_e32 v177, 0xbf59a7d5, v76
	v_fmamk_f32 v152, v73, 0xbf1a4643, v134
	v_fmac_f32_e32 v96, 0x3dbcf732, v50
	v_fmac_f32_e32 v101, 0xbf7ba420, v52
	v_add_f32_e32 v7, v21, v7
	v_fmac_f32_e32 v103, 0xbe8c1d8e, v54
	s_delay_alu instid0(VALU_DEP_4) | instskip(NEXT) | instid1(VALU_DEP_3)
	v_dual_fmac_f32 v119, 0x3ee437d1, v62 :: v_dual_add_f32 v4, v96, v4
	v_dual_add_f32 v140, v152, v140 :: v_dual_add_f32 v7, v23, v7
	v_dual_sub_f32 v23, v170, v67 :: v_dual_add_f32 v104, v136, v104
	s_delay_alu instid0(VALU_DEP_3) | instskip(NEXT) | instid1(VALU_DEP_3)
	v_dual_add_f32 v4, v101, v4 :: v_dual_mul_f32 v133, 0x3f2c7751, v133
	v_add_f32_e32 v7, v33, v7
	s_delay_alu instid0(VALU_DEP_3) | instskip(SKIP_1) | instid1(VALU_DEP_4)
	v_add_f32_e32 v23, v23, v61
	v_add_f32_e32 v85, v109, v164
	;; [unrolled: 1-line block ×3, first 2 shown]
	s_delay_alu instid0(VALU_DEP_4) | instskip(NEXT) | instid1(VALU_DEP_4)
	v_add_f32_e32 v7, v35, v7
	v_add_f32_e32 v22, v22, v23
	s_delay_alu instid0(VALU_DEP_4) | instskip(SKIP_1) | instid1(VALU_DEP_4)
	v_dual_add_f32 v78, v85, v78 :: v_dual_add_f32 v85, v120, v147
	v_mul_f32_e32 v129, 0x3f4c4adb, v129
	v_add_f32_e32 v7, v29, v7
	v_dual_sub_f32 v23, v156, v77 :: v_dual_add_f32 v4, v110, v4
	s_delay_alu instid0(VALU_DEP_4) | instskip(NEXT) | instid1(VALU_DEP_3)
	v_dual_add_f32 v78, v85, v78 :: v_dual_add_f32 v85, v124, v172
	v_add_f32_e32 v7, v31, v7
	s_delay_alu instid0(VALU_DEP_3) | instskip(NEXT) | instid1(VALU_DEP_4)
	v_dual_add_f32 v22, v23, v22 :: v_dual_sub_f32 v23, v160, v84
	v_add_f32_e32 v4, v119, v4
	s_delay_alu instid0(VALU_DEP_4) | instskip(SKIP_1) | instid1(VALU_DEP_4)
	v_add_f32_e32 v66, v85, v78
	v_add_f32_e32 v78, v89, v5
	v_dual_add_f32 v7, v25, v7 :: v_dual_add_f32 v22, v23, v22
	v_dual_sub_f32 v23, v142, v90 :: v_dual_add_f32 v94, v123, v140
	s_delay_alu instid0(VALU_DEP_3) | instskip(SKIP_1) | instid1(VALU_DEP_4)
	v_add_f32_e32 v21, v65, v78
	v_add_f32_e32 v65, v68, v180
	;; [unrolled: 1-line block ×3, first 2 shown]
	s_delay_alu instid0(VALU_DEP_4)
	v_add_f32_e32 v22, v23, v22
	v_fma_f32 v123, 0xbf1a4643, v71, -v129
	v_sub_f32_e32 v23, v151, v97
	v_dual_add_f32 v20, v65, v21 :: v_dual_add_f32 v21, v74, v178
	v_dual_add_f32 v83, v88, v83 :: v_dual_sub_f32 v88, v155, v98
	v_add_f32_e32 v17, v17, v7
	s_delay_alu instid0(VALU_DEP_3) | instskip(SKIP_4) | instid1(VALU_DEP_4)
	v_dual_fmac_f32 v129, 0xbf1a4643, v71 :: v_dual_add_f32 v20, v21, v20
	v_add_f32_e32 v21, v79, v163
	v_sub_f32_e32 v81, v171, v87
	v_sub_f32_e32 v87, v158, v105
	v_add_f32_e32 v83, v88, v83
	v_dual_add_f32 v17, v19, v17 :: v_dual_add_f32 v20, v21, v20
	v_add_f32_e32 v21, v86, v175
	v_add_f32_e32 v75, v81, v75
	v_sub_f32_e32 v81, v189, v93
	v_fma_f32 v19, 0xbf7ba420, v53, -v112
	v_add_f32_e32 v13, v13, v17
	v_dual_add_f32 v20, v21, v20 :: v_dual_add_f32 v21, v92, v149
	v_add_f32_e32 v83, v87, v83
	v_add_f32_e32 v75, v81, v75
	v_sub_f32_e32 v87, v148, v111
	v_sub_f32_e32 v81, v157, v100
	v_add_f32_e32 v20, v21, v20
	v_add_f32_e32 v21, v99, v144
	v_fma_f32 v17, 0xbe8c1d8e, v55, -v121
	v_add_f32_e32 v83, v87, v83
	v_add_f32_e32 v13, v15, v13
	v_fma_f32 v15, 0x3f6eb680, v60, -v127
	v_dual_add_f32 v7, v21, v20 :: v_dual_add_f32 v20, v26, v6
	v_sub_f32_e32 v87, v145, v122
	v_fma_f32 v21, 0x3dbcf732, v51, -v106
	v_add_f32_e32 v75, v81, v75
	s_delay_alu instid0(VALU_DEP_4) | instskip(NEXT) | instid1(VALU_DEP_4)
	v_dual_sub_f32 v81, v150, v107 :: v_dual_add_f32 v16, v16, v20
	v_add_f32_e32 v83, v87, v83
	s_delay_alu instid0(VALU_DEP_4) | instskip(SKIP_1) | instid1(VALU_DEP_4)
	v_add_f32_e32 v5, v21, v5
	v_add_f32_e32 v9, v9, v13
	v_dual_add_f32 v75, v81, v75 :: v_dual_add_f32 v16, v18, v16
	v_sub_f32_e32 v87, v177, v126
	s_delay_alu instid0(VALU_DEP_4) | instskip(SKIP_1) | instid1(VALU_DEP_4)
	v_add_f32_e32 v5, v19, v5
	v_fma_f32 v13, 0x3ee437d1, v63, -v130
	v_dual_add_f32 v9, v11, v9 :: v_dual_add_f32 v12, v12, v16
	v_sub_f32_e32 v81, v141, v114
	s_delay_alu instid0(VALU_DEP_4) | instskip(SKIP_2) | instid1(VALU_DEP_4)
	v_add_f32_e32 v5, v17, v5
	v_add_f32_e32 v87, v87, v83
	;; [unrolled: 1-line block ×3, first 2 shown]
	v_dual_add_f32 v12, v14, v12 :: v_dual_add_f32 v75, v81, v75
	s_delay_alu instid0(VALU_DEP_4) | instskip(SKIP_1) | instid1(VALU_DEP_3)
	v_dual_add_f32 v5, v15, v5 :: v_dual_add_f32 v88, v128, v108
	v_fma_f32 v123, 0x3f3d2fb0, v76, -v133
	v_add_f32_e32 v8, v8, v12
	v_fma_f32 v12, 0xbf59a7d5, v70, -v135
	s_delay_alu instid0(VALU_DEP_4) | instskip(SKIP_1) | instid1(VALU_DEP_4)
	v_add_f32_e32 v11, v13, v5
	v_dual_add_f32 v5, v37, v9 :: v_dual_add_f32 v6, v23, v22
	v_add_f32_e32 v8, v10, v8
	v_mul_lo_u16 v10, v116, 17
	v_sub_f32_e32 v81, v139, v113
	v_add_f32_e32 v9, v12, v11
	v_fma_f32 v11, 0xbf1a4643, v73, -v134
	v_add_f32_e32 v12, v125, v4
	v_add_f32_e32 v4, v36, v8
	v_and_b32_e32 v8, 0xffff, v10
	v_fma_f32 v10, 0x3f3d2fb0, v82, -v118
	v_add_f32_e32 v9, v11, v9
	v_add_f32_e32 v11, v129, v12
	v_fmac_f32_e32 v133, 0x3f3d2fb0, v76
	v_add_lshl_u32 v12, v58, v8, 3
	v_add_f32_e32 v65, v81, v75
	v_add_f32_e32 v93, v123, v104
	s_delay_alu instid0(VALU_DEP_4)
	v_dual_add_f32 v9, v10, v9 :: v_dual_add_f32 v8, v133, v11
	ds_store_2addr_b64 v12, v[4:5], v[6:7] offset1:1
	ds_store_2addr_b64 v12, v[65:66], v[87:88] offset0:2 offset1:3
	ds_store_2addr_b64 v12, v[93:94], v[137:138] offset0:4 offset1:5
	;; [unrolled: 1-line block ×7, first 2 shown]
	ds_store_b64 v12, v[2:3] offset:128
.LBB0_7:
	s_wait_alu 0xfffe
	s_or_b32 exec_lo, exec_lo, s0
	v_and_b32_e32 v5, 0xff, v116
	v_add_nc_u16 v4, v116, 0x55
	s_load_b128 s[4:7], s[4:5], 0x0
	global_wb scope:SCOPE_SE
	s_wait_dscnt 0x0
	s_wait_kmcnt 0x0
	s_barrier_signal -1
	v_mul_lo_u16 v8, 0xf1, v5
	s_barrier_wait -1
	global_inv scope:SCOPE_SE
	v_add_co_u32 v9, null, 0xff, v116
	v_lshrrev_b16 v22, 12, v8
	v_add_nc_u16 v5, v116, 0xaa
	v_add_co_u32 v10, null, 0x154, v116
	s_delay_alu instid0(VALU_DEP_4) | instskip(NEXT) | instid1(VALU_DEP_4)
	v_and_b32_e32 v16, 0xffff, v9
	v_mul_lo_u16 v7, v22, 17
	v_add_co_u32 v11, null, 0x1a9, v116
	v_add_co_u32 v13, null, 0x1fe, v116
	s_delay_alu instid0(VALU_DEP_3) | instskip(SKIP_2) | instid1(VALU_DEP_4)
	v_sub_nc_u16 v15, v116, v7
	v_add_lshl_u32 v118, v58, v116, 3
	v_mul_lo_u16 v34, v22, 34
	v_and_b32_e32 v18, 0xffff, v13
	v_cmp_gt_u16_e64 s0, 0x44, v116
	v_and_b32_e32 v31, 0xff, v15
	v_add_nc_u32_e32 v51, 0x1c00, v118
	s_delay_alu instid0(VALU_DEP_4) | instskip(NEXT) | instid1(VALU_DEP_3)
	v_mul_u32_u24_e32 v18, 0xf0f1, v18
	v_lshlrev_b32_e32 v15, 3, v31
	s_delay_alu instid0(VALU_DEP_2) | instskip(SKIP_3) | instid1(VALU_DEP_2)
	v_lshrrev_b32_e32 v44, 20, v18
	global_load_b64 v[87:88], v15, s[2:3]
	v_and_b32_e32 v6, 0xff, v4
	v_and_b32_e32 v14, 0xff, v5
	v_mul_lo_u16 v6, 0xf1, v6
	s_delay_alu instid0(VALU_DEP_2) | instskip(SKIP_1) | instid1(VALU_DEP_3)
	v_mul_lo_u16 v7, 0xf1, v14
	v_mul_u32_u24_e32 v14, 0xf0f1, v16
	v_lshrrev_b16 v30, 12, v6
	s_delay_alu instid0(VALU_DEP_3) | instskip(NEXT) | instid1(VALU_DEP_3)
	v_lshrrev_b16 v32, 12, v7
	v_lshrrev_b32_e32 v41, 20, v14
	s_delay_alu instid0(VALU_DEP_3) | instskip(NEXT) | instid1(VALU_DEP_2)
	v_mul_lo_u16 v12, v30, 17
	v_mul_lo_u16 v19, v41, 17
	s_delay_alu instid0(VALU_DEP_2) | instskip(NEXT) | instid1(VALU_DEP_2)
	v_sub_nc_u16 v12, v4, v12
	v_sub_nc_u16 v45, v9, v19
	s_delay_alu instid0(VALU_DEP_2) | instskip(SKIP_1) | instid1(VALU_DEP_3)
	v_and_b32_e32 v40, 0xff, v12
	v_and_b32_e32 v12, 0xffff, v11
	v_mad_u16 v41, v41, 34, v45
	s_delay_alu instid0(VALU_DEP_3) | instskip(NEXT) | instid1(VALU_DEP_3)
	v_lshlrev_b32_e32 v16, 3, v40
	v_mul_u32_u24_e32 v12, 0xf0f1, v12
	global_load_b64 v[91:92], v16, s[2:3]
	v_and_b32_e32 v17, 0xffff, v10
	v_lshrrev_b32_e32 v43, 20, v12
	s_delay_alu instid0(VALU_DEP_2) | instskip(SKIP_1) | instid1(VALU_DEP_2)
	v_mul_u32_u24_e32 v14, 0xf0f1, v17
	v_mul_lo_u16 v17, v32, 17
	v_lshrrev_b32_e32 v42, 20, v14
	s_delay_alu instid0(VALU_DEP_2) | instskip(SKIP_2) | instid1(VALU_DEP_4)
	v_sub_nc_u16 v12, v5, v17
	v_mul_lo_u16 v14, v43, 17
	v_and_b32_e32 v17, 0xffff, v45
	v_mul_lo_u16 v9, v42, 17
	s_delay_alu instid0(VALU_DEP_4)
	v_and_b32_e32 v46, 0xff, v12
	v_mul_lo_u16 v12, v44, 17
	v_sub_nc_u16 v48, v11, v14
	v_lshlrev_b32_e32 v11, 3, v17
	v_sub_nc_u16 v47, v10, v9
	v_lshlrev_b32_e32 v9, 3, v46
	v_sub_nc_u16 v49, v13, v12
	v_mad_u16 v43, v43, 34, v48
	global_load_b64 v[89:90], v11, s[2:3]
	v_and_b32_e32 v12, 0xffff, v48
	global_load_b64 v[93:94], v9, s[2:3]
	v_and_b32_e32 v10, 0xffff, v47
	v_and_b32_e32 v13, 0xffff, v49
	v_mad_u16 v42, v42, 34, v47
	v_lshlrev_b32_e32 v9, 3, v12
	v_mad_u16 v44, v44, 34, v49
	v_lshlrev_b32_e32 v10, 3, v10
	v_lshlrev_b32_e32 v11, 3, v13
	s_clause 0x2
	global_load_b64 v[85:86], v10, s[2:3]
	global_load_b64 v[83:84], v9, s[2:3]
	;; [unrolled: 1-line block ×3, first 2 shown]
	ds_load_2addr_b64 v[10:13], v118 offset1:85
	v_add_nc_u32_e32 v50, 0xc00, v118
	ds_load_2addr_b64 v[14:17], v118 offset0:170 offset1:255
	v_add_nc_u32_e32 v23, 0x1000, v118
	v_add_nc_u32_e32 v26, 0x1800, v118
	v_and_b32_e32 v30, 0xffff, v30
	ds_load_2addr_b64 v[18:21], v50 offset0:126 offset1:211
	ds_load_2addr_b64 v[22:25], v23 offset0:168 offset1:253
	;; [unrolled: 1-line block ×3, first 2 shown]
	v_mul_u32_u24_e32 v30, 34, v30
	s_wait_loadcnt_dscnt 0x200
	v_mul_f32_e32 v45, v28, v86
	s_delay_alu instid0(VALU_DEP_1) | instskip(SKIP_4) | instid1(VALU_DEP_4)
	v_dual_fmac_f32 v45, v29, v85 :: v_dual_add_nc_u32 v30, v30, v40
	v_and_b32_e32 v40, 0xffff, v41
	v_and_b32_e32 v41, 0xffff, v42
	;; [unrolled: 1-line block ×3, first 2 shown]
	v_dual_mul_f32 v44, v29, v86 :: v_dual_and_b32 v43, 0xffff, v44
	v_add_lshl_u32 v125, v58, v40, 3
	s_delay_alu instid0(VALU_DEP_4) | instskip(NEXT) | instid1(VALU_DEP_4)
	v_add_lshl_u32 v124, v58, v41, 3
	v_add_lshl_u32 v123, v58, v42, 3
	s_delay_alu instid0(VALU_DEP_4)
	v_add_lshl_u32 v122, v58, v43, 3
	v_mul_f32_e32 v42, v27, v90
	v_mul_f32_e32 v43, v26, v90
	v_fma_f32 v28, v28, v85, -v44
	v_add_nc_u32_e32 v33, 0x800, v118
	v_mul_f32_e32 v41, v24, v94
	v_fma_f32 v26, v26, v89, -v42
	v_and_b32_e32 v53, 0xffff, v32
	v_dual_fmac_f32 v43, v27, v89 :: v_dual_and_b32 v54, 0xfe, v34
	ds_load_2addr_b64 v[32:35], v33 offset0:84 offset1:169
	ds_load_2addr_b64 v[36:39], v51 offset0:124 offset1:209
	v_sub_f32_e32 v26, v16, v26
	v_mul_u32_u24_e32 v53, 34, v53
	v_sub_f32_e32 v27, v17, v43
	v_add_nc_u32_e32 v31, v54, v31
	v_fmac_f32_e32 v41, v25, v93
	v_mul_f32_e32 v40, v25, v94
	v_fma_f32 v16, v16, 2.0, -v26
	v_fma_f32 v17, v17, 2.0, -v27
	v_add_lshl_u32 v126, v58, v31, 3
	v_sub_f32_e32 v25, v15, v41
	v_fma_f32 v24, v24, v93, -v40
	global_wb scope:SCOPE_SE
	s_wait_loadcnt_dscnt 0x0
	s_barrier_signal -1
	s_barrier_wait -1
	v_fma_f32 v15, v15, 2.0, -v25
	v_sub_f32_e32 v24, v14, v24
	global_inv scope:SCOPE_SE
	v_sub_f32_e32 v41, v33, v45
	v_mul_f32_e32 v49, v38, v82
	v_add_nc_u32_e32 v31, v53, v46
	v_add_lshl_u32 v128, v58, v30, 3
	v_mul_f32_e32 v30, v21, v88
	v_mul_f32_e32 v46, v37, v84
	;; [unrolled: 1-line block ×3, first 2 shown]
	v_add_lshl_u32 v127, v58, v31, 3
	v_mul_f32_e32 v31, v20, v88
	v_fma_f32 v20, v20, v87, -v30
	v_mul_f32_e32 v30, v22, v92
	v_mul_f32_e32 v48, v39, v82
	v_dual_fmac_f32 v49, v39, v81 :: v_dual_add_nc_u32 v52, 0x400, v118
	v_fmac_f32_e32 v31, v21, v87
	v_mul_f32_e32 v21, v23, v92
	v_fmac_f32_e32 v30, v23, v91
	v_fma_f32 v29, v36, v83, -v46
	v_dual_sub_f32 v20, v10, v20 :: v_dual_fmac_f32 v47, v37, v83
	s_delay_alu instid0(VALU_DEP_4) | instskip(SKIP_3) | instid1(VALU_DEP_4)
	v_fma_f32 v22, v22, v91, -v21
	v_sub_f32_e32 v21, v11, v31
	v_fma_f32 v36, v38, v81, -v48
	v_dual_sub_f32 v23, v13, v30 :: v_dual_sub_f32 v40, v32, v28
	v_sub_f32_e32 v22, v12, v22
	s_delay_alu instid0(VALU_DEP_3)
	v_dual_sub_f32 v38, v18, v36 :: v_dual_add_nc_u32 v9, 0x1400, v118
	v_fma_f32 v10, v10, 2.0, -v20
	v_fma_f32 v11, v11, 2.0, -v21
	v_dual_sub_f32 v30, v34, v29 :: v_dual_sub_f32 v31, v35, v47
	v_sub_f32_e32 v39, v19, v49
	v_fma_f32 v12, v12, 2.0, -v22
	v_fma_f32 v13, v13, 2.0, -v23
	;; [unrolled: 1-line block ×9, first 2 shown]
	ds_store_2addr_b64 v126, v[10:11], v[20:21] offset1:17
	ds_store_2addr_b64 v128, v[12:13], v[22:23] offset1:17
	;; [unrolled: 1-line block ×7, first 2 shown]
	global_wb scope:SCOPE_SE
	s_wait_dscnt 0x0
	s_barrier_signal -1
	s_barrier_wait -1
	global_inv scope:SCOPE_SE
	ds_load_2addr_b64 v[32:35], v118 offset1:85
	ds_load_2addr_b64 v[52:55], v52 offset0:110 offset1:195
	ds_load_2addr_b64 v[44:47], v50 offset0:92 offset1:177
	;; [unrolled: 1-line block ×4, first 2 shown]
	s_and_saveexec_b32 s1, s0
	s_cbranch_execz .LBB0_9
; %bb.8:
	v_add_nc_u32_e32 v10, 0x500, v118
	ds_load_2addr_b64 v[36:39], v9 offset0:6 offset1:244
	ds_load_2addr_b64 v[28:31], v10 offset0:10 offset1:248
	ds_load_b64 v[56:57], v118 offset:8976
.LBB0_9:
	s_wait_alu 0xfffe
	s_or_b32 exec_lo, exec_lo, s1
	v_lshrrev_b16 v59, 13, v8
	v_lshrrev_b16 v60, 13, v6
	v_lshrrev_b16 v120, 13, v7
	s_delay_alu instid0(VALU_DEP_3) | instskip(NEXT) | instid1(VALU_DEP_2)
	v_mul_lo_u16 v8, v59, 34
	v_mul_lo_u16 v7, v120, 34
	s_delay_alu instid0(VALU_DEP_2) | instskip(SKIP_1) | instid1(VALU_DEP_2)
	v_sub_nc_u16 v6, v116, v8
	v_mul_lo_u16 v8, v60, 34
	v_and_b32_e32 v61, 0xff, v6
	s_delay_alu instid0(VALU_DEP_2) | instskip(NEXT) | instid1(VALU_DEP_2)
	v_sub_nc_u16 v4, v4, v8
	v_lshlrev_b32_e32 v6, 5, v61
	global_load_b128 v[24:27], v6, s[2:3] offset:136
	v_and_b32_e32 v62, 0xff, v4
	v_sub_nc_u16 v4, v5, v7
	s_delay_alu instid0(VALU_DEP_2)
	v_lshlrev_b32_e32 v5, 5, v62
	global_load_b128 v[16:19], v5, s[2:3] offset:136
	v_and_b32_e32 v59, 0xffff, v59
	s_wait_loadcnt_dscnt 0x102
	v_mul_f32_e32 v65, v45, v27
	global_load_b128 v[20:23], v6, s[2:3] offset:152
	v_dual_mul_f32 v66, v44, v27 :: v_dual_and_b32 v119, 0xff, v4
	v_dual_mul_f32 v63, v53, v25 :: v_dual_and_b32 v60, 0xffff, v60
	v_mul_f32_e32 v64, v52, v25
	v_fma_f32 v44, v44, v26, -v65
	s_delay_alu instid0(VALU_DEP_3) | instskip(SKIP_4) | instid1(VALU_DEP_3)
	v_fma_f32 v52, v52, v24, -v63
	s_wait_loadcnt 0x1
	v_mul_f32_e32 v72, v54, v17
	v_mul_u32_u24_e32 v59, 0xaa, v59
	v_dual_mul_f32 v71, v55, v17 :: v_dual_fmac_f32 v64, v53, v24
	v_fmac_f32_e32 v72, v55, v16
	s_delay_alu instid0(VALU_DEP_3) | instskip(NEXT) | instid1(VALU_DEP_2)
	v_add_nc_u32_e32 v59, v59, v61
	v_add_f32_e32 v102, v35, v72
	s_wait_loadcnt_dscnt 0x0
	v_mul_f32_e32 v70, v48, v23
	v_mul_f32_e32 v68, v40, v21
	v_dual_mul_f32 v67, v41, v21 :: v_dual_lshlrev_b32 v4, 5, v119
	s_clause 0x2
	global_load_b128 v[12:15], v5, s[2:3] offset:152
	global_load_b128 v[8:11], v4, s[2:3] offset:136
	;; [unrolled: 1-line block ×3, first 2 shown]
	v_mul_f32_e32 v69, v49, v23
	v_mul_u32_u24_e32 v60, 0xaa, v60
	v_add_lshl_u32 v130, v58, v59, 3
	v_mul_f32_e32 v73, v47, v19
	v_mul_f32_e32 v74, v46, v19
	v_fma_f32 v53, v40, v20, -v67
	v_add_nc_u32_e32 v60, v60, v62
	v_fmac_f32_e32 v66, v45, v26
	v_fma_f32 v65, v48, v22, -v69
	v_sub_f32_e32 v45, v52, v44
	global_wb scope:SCOPE_SE
	s_wait_loadcnt 0x0
	v_add_lshl_u32 v129, v58, v60, 3
	s_barrier_signal -1
	s_barrier_wait -1
	global_inv scope:SCOPE_SE
	v_dual_mul_f32 v76, v42, v13 :: v_dual_mul_f32 v77, v51, v15
	v_mul_f32_e32 v62, v30, v9
	v_dual_mul_f32 v78, v50, v15 :: v_dual_mul_f32 v79, v31, v9
	v_dual_mul_f32 v95, v37, v11 :: v_dual_mul_f32 v96, v39, v5
	v_dual_mul_f32 v61, v36, v11 :: v_dual_mul_f32 v60, v38, v5
	v_mul_f32_e32 v59, v56, v7
	v_mul_f32_e32 v75, v43, v13
	v_dual_mul_f32 v97, v57, v7 :: v_dual_fmac_f32 v74, v47, v18
	s_delay_alu instid0(VALU_DEP_4)
	v_dual_fmac_f32 v76, v43, v12 :: v_dual_fmac_f32 v61, v37, v10
	v_dual_fmac_f32 v78, v51, v14 :: v_dual_add_f32 v47, v52, v65
	v_dual_fmac_f32 v62, v31, v8 :: v_dual_fmac_f32 v59, v57, v6
	v_fma_f32 v36, v36, v10, -v95
	v_fma_f32 v31, v38, v4, -v96
	v_dual_fmac_f32 v60, v39, v4 :: v_dual_add_f32 v43, v44, v53
	v_fmac_f32_e32 v70, v49, v22
	v_fmac_f32_e32 v68, v41, v20
	v_fma_f32 v41, v54, v16, -v71
	v_fma_f32 v48, v46, v18, -v73
	;; [unrolled: 1-line block ×3, first 2 shown]
	v_sub_f32_e32 v69, v64, v70
	v_fma_f32 v67, v50, v14, -v77
	v_fma_f32 v40, v30, v8, -v79
	;; [unrolled: 1-line block ×3, first 2 shown]
	v_dual_add_f32 v42, v32, v52 :: v_dual_add_f32 v77, v34, v41
	v_dual_sub_f32 v46, v65, v53 :: v_dual_sub_f32 v49, v44, v52
	v_dual_sub_f32 v50, v53, v65 :: v_dual_add_f32 v55, v66, v68
	v_add_f32_e32 v51, v33, v64
	v_sub_f32_e32 v73, v52, v65
	v_dual_sub_f32 v52, v64, v66 :: v_dual_add_f32 v103, v74, v76
	v_dual_add_f32 v108, v72, v78 :: v_dual_sub_f32 v107, v78, v76
	v_dual_add_f32 v110, v36, v31 :: v_dual_add_f32 v113, v61, v60
	v_sub_f32_e32 v114, v62, v61
	v_sub_f32_e32 v71, v66, v68
	v_dual_add_f32 v57, v64, v70 :: v_dual_sub_f32 v96, v74, v76
	v_add_f32_e32 v79, v48, v54
	v_dual_add_f32 v99, v41, v67 :: v_dual_sub_f32 v100, v48, v41
	v_dual_sub_f32 v75, v44, v53 :: v_dual_sub_f32 v56, v70, v68
	v_dual_sub_f32 v63, v66, v64 :: v_dual_sub_f32 v64, v68, v70
	;; [unrolled: 1-line block ×4, first 2 shown]
	v_sub_f32_e32 v105, v48, v54
	v_dual_sub_f32 v37, v62, v59 :: v_dual_add_f32 v132, v45, v46
	v_dual_sub_f32 v111, v40, v36 :: v_dual_sub_f32 v112, v30, v31
	v_sub_f32_e32 v39, v40, v30
	v_add_f32_e32 v131, v42, v44
	v_fma_f32 v44, -0.5, v43, v32
	v_fma_f32 v46, -0.5, v47, v32
	v_dual_add_f32 v133, v49, v50 :: v_dual_add_f32 v134, v52, v56
	v_add_f32_e32 v51, v51, v66
	v_fma_f32 v45, -0.5, v55, v33
	s_delay_alu instid0(VALU_DEP_4)
	v_dual_add_f32 v55, v77, v48 :: v_dual_fmamk_f32 v52, v71, 0xbf737871, v46
	v_fma_f32 v49, -0.5, v103, v35
	v_fma_f32 v32, -0.5, v110, v28
	v_fmac_f32_e32 v35, -0.5, v108
	v_fma_f32 v42, -0.5, v113, v29
	v_dual_sub_f32 v95, v72, v78 :: v_dual_sub_f32 v104, v41, v67
	v_fma_f32 v47, -0.5, v57, v33
	v_fma_f32 v48, -0.5, v79, v34
	v_add_f32_e32 v57, v102, v74
	v_dual_sub_f32 v72, v74, v72 :: v_dual_sub_f32 v109, v76, v78
	v_sub_f32_e32 v38, v61, v60
	v_sub_f32_e32 v121, v59, v60
	v_fma_f32 v34, -0.5, v99, v34
	v_dual_add_f32 v135, v63, v64 :: v_dual_fmac_f32 v46, 0x3f737871, v71
	v_add_f32_e32 v74, v106, v107
	v_dual_fmamk_f32 v50, v69, 0x3f737871, v44 :: v_dual_sub_f32 v41, v36, v31
	v_add_f32_e32 v66, v131, v53
	v_dual_fmac_f32 v44, 0xbf737871, v69 :: v_dual_add_f32 v77, v97, v98
	v_dual_add_f32 v68, v51, v68 :: v_dual_fmamk_f32 v51, v73, 0xbf737871, v45
	s_delay_alu instid0(VALU_DEP_4)
	v_dual_add_f32 v97, v55, v54 :: v_dual_fmac_f32 v50, 0x3f167918, v71
	v_dual_fmamk_f32 v54, v37, 0xbf737871, v32 :: v_dual_add_f32 v43, v111, v112
	v_fmamk_f32 v64, v105, 0x3f737871, v35
	v_fmac_f32_e32 v35, 0xbf737871, v105
	v_fmamk_f32 v55, v39, 0x3f737871, v42
	v_dual_add_f32 v79, v100, v101 :: v_dual_fmamk_f32 v56, v95, 0x3f737871, v48
	v_fmac_f32_e32 v48, 0xbf737871, v95
	v_dual_fmac_f32 v45, 0x3f737871, v73 :: v_dual_add_f32 v76, v57, v76
	v_fmamk_f32 v53, v75, 0x3f737871, v47
	v_dual_fmac_f32 v47, 0xbf737871, v75 :: v_dual_add_f32 v72, v72, v109
	v_add_f32_e32 v33, v114, v121
	v_fmamk_f32 v63, v96, 0xbf737871, v34
	v_fmac_f32_e32 v34, 0x3f737871, v96
	v_fmamk_f32 v57, v104, 0xbf737871, v49
	v_fmac_f32_e32 v49, 0x3f737871, v104
	v_dual_add_f32 v65, v66, v65 :: v_dual_fmac_f32 v44, 0xbf167918, v71
	v_add_f32_e32 v66, v68, v70
	v_dual_fmac_f32 v46, 0xbf167918, v69 :: v_dual_fmac_f32 v51, 0xbf167918, v75
	v_dual_add_f32 v67, v97, v67 :: v_dual_fmac_f32 v64, 0xbf167918, v104
	v_fmac_f32_e32 v35, 0x3f167918, v104
	v_fmac_f32_e32 v54, 0xbf167918, v38
	;; [unrolled: 1-line block ×3, first 2 shown]
	v_dual_fmac_f32 v52, 0x3f167918, v69 :: v_dual_fmac_f32 v45, 0x3f167918, v75
	v_dual_fmac_f32 v47, 0x3f167918, v73 :: v_dual_fmac_f32 v56, 0x3f167918, v96
	v_dual_add_f32 v68, v76, v78 :: v_dual_fmac_f32 v53, 0xbf167918, v73
	v_fmac_f32_e32 v48, 0xbf167918, v96
	v_dual_fmac_f32 v34, 0xbf167918, v95 :: v_dual_fmac_f32 v57, 0xbf167918, v105
	v_fmac_f32_e32 v63, 0x3f167918, v95
	v_fmac_f32_e32 v49, 0x3f167918, v105
	v_dual_fmac_f32 v50, 0x3e9e377a, v132 :: v_dual_fmac_f32 v51, 0x3e9e377a, v134
	v_dual_fmac_f32 v64, 0x3e9e377a, v72 :: v_dual_fmac_f32 v55, 0x3e9e377a, v33
	;; [unrolled: 1-line block ×9, first 2 shown]
	ds_store_2addr_b64 v130, v[65:66], v[50:51] offset1:34
	ds_store_2addr_b64 v130, v[52:53], v[46:47] offset0:68 offset1:102
	ds_store_b64 v130, v[44:45] offset:1088
	ds_store_2addr_b64 v129, v[67:68], v[56:57] offset1:34
	ds_store_2addr_b64 v129, v[63:64], v[34:35] offset0:68 offset1:102
	ds_store_b64 v129, v[48:49] offset:1088
	s_and_saveexec_b32 s1, s0
	s_cbranch_execz .LBB0_11
; %bb.10:
	v_dual_add_f32 v34, v62, v59 :: v_dual_mul_f32 v45, 0x3f737871, v37
	v_dual_mul_f32 v47, 0x3e9e377a, v43 :: v_dual_sub_f32 v52, v31, v30
	v_dual_add_f32 v43, v40, v30 :: v_dual_mul_f32 v48, 0x3f737871, v39
	s_delay_alu instid0(VALU_DEP_3) | instskip(SKIP_1) | instid1(VALU_DEP_3)
	v_fma_f32 v35, -0.5, v34, v29
	v_dual_mul_f32 v46, 0x3f167918, v38 :: v_dual_sub_f32 v51, v36, v40
	v_fma_f32 v34, -0.5, v43, v28
	v_add_f32_e32 v32, v32, v45
	v_mul_f32_e32 v33, 0x3e9e377a, v33
	v_dual_add_f32 v45, v29, v62 :: v_dual_add_f32 v40, v28, v40
	s_delay_alu instid0(VALU_DEP_4) | instskip(NEXT) | instid1(VALU_DEP_4)
	v_fmamk_f32 v43, v38, 0xbf737871, v34
	v_dual_add_f32 v32, v46, v32 :: v_dual_sub_f32 v49, v61, v62
	v_dual_sub_f32 v50, v60, v59 :: v_dual_mul_f32 v53, 0x3f167918, v41
	s_delay_alu instid0(VALU_DEP_3) | instskip(NEXT) | instid1(VALU_DEP_3)
	v_dual_sub_f32 v42, v42, v48 :: v_dual_fmac_f32 v43, 0x3f167918, v37
	v_add_f32_e32 v28, v47, v32
	v_add_f32_e32 v32, v45, v61
	;; [unrolled: 1-line block ×3, first 2 shown]
	v_fmac_f32_e32 v34, 0x3f737871, v38
	s_delay_alu instid0(VALU_DEP_3) | instskip(SKIP_1) | instid1(VALU_DEP_4)
	v_add_f32_e32 v32, v32, v60
	v_fmamk_f32 v44, v41, 0x3f737871, v35
	v_dual_add_f32 v36, v36, v31 :: v_dual_fmac_f32 v35, 0xbf737871, v41
	s_delay_alu instid0(VALU_DEP_3) | instskip(NEXT) | instid1(VALU_DEP_3)
	v_dual_fmac_f32 v34, 0xbf167918, v37 :: v_dual_add_f32 v31, v32, v59
	v_dual_add_f32 v49, v49, v50 :: v_dual_fmac_f32 v44, 0xbf167918, v39
	v_add_f32_e32 v50, v51, v52
	s_delay_alu instid0(VALU_DEP_4) | instskip(SKIP_1) | instid1(VALU_DEP_3)
	v_dual_sub_f32 v42, v42, v53 :: v_dual_fmac_f32 v35, 0x3f167918, v39
	v_add_f32_e32 v30, v36, v30
	v_dual_fmac_f32 v44, 0x3e9e377a, v49 :: v_dual_fmac_f32 v43, 0x3e9e377a, v50
	s_delay_alu instid0(VALU_DEP_3) | instskip(SKIP_2) | instid1(VALU_DEP_2)
	v_add_f32_e32 v29, v33, v42
	v_and_b32_e32 v33, 0xffff, v120
	v_dual_fmac_f32 v35, 0x3e9e377a, v49 :: v_dual_fmac_f32 v34, 0x3e9e377a, v50
	v_mul_u32_u24_e32 v33, 0xaa, v33
	s_delay_alu instid0(VALU_DEP_1) | instskip(NEXT) | instid1(VALU_DEP_1)
	v_add_nc_u32_e32 v33, v33, v119
	v_add_lshl_u32 v32, v58, v33, 3
	ds_store_2addr_b64 v32, v[30:31], v[28:29] offset1:34
	ds_store_2addr_b64 v32, v[43:44], v[34:35] offset0:68 offset1:102
	ds_store_b64 v32, v[54:55] offset:1088
.LBB0_11:
	s_wait_alu 0xfffe
	s_or_b32 exec_lo, exec_lo, s1
	v_mad_co_u64_u32 v[32:33], null, v116, 48, s[2:3]
	global_wb scope:SCOPE_SE
	s_wait_dscnt 0x0
	s_barrier_signal -1
	s_barrier_wait -1
	global_inv scope:SCOPE_SE
	v_lshl_add_u32 v121, v116, 3, v117
	s_clause 0x5
	global_load_b128 v[44:47], v[32:33], off offset:1224
	global_load_b128 v[40:43], v[32:33], off offset:1240
	;; [unrolled: 1-line block ×6, first 2 shown]
	ds_load_2addr_b64 v[56:59], v118 offset0:170 offset1:255
	v_add_nc_u32_e32 v52, 0x800, v118
	v_add_nc_u32_e32 v53, 0xc00, v118
	ds_load_2addr_b64 v[60:63], v52 offset0:84 offset1:169
	ds_load_2addr_b64 v[64:67], v53 offset0:126 offset1:211
	v_add_nc_u32_e32 v68, 0x1000, v118
	v_add_nc_u32_e32 v52, 0x1800, v118
	v_add_nc_u32_e32 v53, 0x1c00, v118
	v_add_nc_u32_e32 v105, 0x1400, v121
	s_wait_loadcnt_dscnt 0x501
	v_mul_f32_e32 v95, v61, v47
	s_wait_loadcnt_dscnt 0x400
	v_mul_f32_e32 v107, v64, v41
	ds_load_2addr_b64 v[68:71], v68 offset0:168 offset1:253
	ds_load_2addr_b64 v[72:75], v52 offset0:82 offset1:167
	s_wait_loadcnt 0x2
	v_mul_f32_e32 v132, v63, v51
	v_mul_f32_e32 v96, v60, v47
	ds_load_2addr_b64 v[76:79], v53 offset0:124 offset1:209
	ds_load_2addr_b64 v[101:104], v118 offset1:85
	v_add_nc_u32_e32 v99, 0x1000, v121
	v_mul_f32_e32 v52, v57, v45
	v_mul_f32_e32 v53, v56, v45
	v_dual_mul_f32 v106, v65, v41 :: v_dual_mul_f32 v133, v62, v51
	v_add_nc_u32_e32 v97, 0x400, v121
	v_add_nc_u32_e32 v98, 0x800, v121
	v_mul_f32_e32 v114, v59, v49
	v_mul_f32_e32 v131, v58, v49
	s_wait_loadcnt 0x1
	v_dual_mul_f32 v134, v67, v37 :: v_dual_fmac_f32 v53, v57, v44
	v_dual_mul_f32 v135, v66, v37 :: v_dual_fmac_f32 v96, v61, v46
	v_fma_f32 v52, v56, v44, -v52
	v_fma_f32 v56, v60, v46, -v95
	s_wait_dscnt 0x3
	v_mul_f32_e32 v108, v69, v43
	s_wait_dscnt 0x2
	v_dual_mul_f32 v110, v73, v29 :: v_dual_mul_f32 v137, v70, v39
	s_wait_dscnt 0x1
	v_mul_f32_e32 v112, v77, v31
	v_mul_f32_e32 v109, v68, v43
	v_dual_mul_f32 v111, v72, v29 :: v_dual_mul_f32 v136, v71, v39
	s_wait_loadcnt 0x0
	v_dual_mul_f32 v138, v75, v33 :: v_dual_fmac_f32 v107, v65, v40
	v_mul_f32_e32 v140, v79, v35
	v_fma_f32 v57, v64, v40, -v106
	v_fma_f32 v61, v72, v28, -v110
	;; [unrolled: 1-line block ×3, first 2 shown]
	v_dual_mul_f32 v113, v76, v31 :: v_dual_add_nc_u32 v100, 0x1800, v121
	v_mul_f32_e32 v139, v74, v33
	v_mul_f32_e32 v141, v78, v35
	v_fma_f32 v60, v68, v42, -v108
	v_fmac_f32_e32 v109, v69, v42
	v_fmac_f32_e32 v111, v73, v28
	v_fma_f32 v58, v58, v48, -v114
	v_fmac_f32_e32 v131, v59, v48
	v_fma_f32 v59, v62, v50, -v132
	v_fma_f32 v62, v66, v36, -v134
	v_fmac_f32_e32 v135, v67, v36
	v_fma_f32 v65, v74, v32, -v138
	v_fma_f32 v66, v78, v34, -v140
	v_add_f32_e32 v67, v52, v64
	v_sub_f32_e32 v52, v52, v64
	v_dual_add_f32 v64, v56, v61 :: v_dual_fmac_f32 v133, v63, v50
	v_fma_f32 v63, v70, v38, -v136
	v_dual_add_f32 v70, v57, v60 :: v_dual_fmac_f32 v137, v71, v38
	v_dual_fmac_f32 v139, v75, v32 :: v_dual_add_f32 v72, v58, v66
	v_sub_f32_e32 v56, v56, v61
	v_dual_add_f32 v69, v96, v111 :: v_dual_add_f32 v74, v59, v65
	v_sub_f32_e32 v58, v58, v66
	v_dual_fmac_f32 v141, v79, v34 :: v_dual_add_f32 v78, v64, v67
	v_fmac_f32_e32 v113, v77, v30
	v_sub_f32_e32 v61, v96, v111
	v_dual_add_f32 v71, v107, v109 :: v_dual_sub_f32 v106, v64, v67
	s_delay_alu instid0(VALU_DEP_4) | instskip(NEXT) | instid1(VALU_DEP_4)
	v_sub_f32_e32 v66, v131, v141
	v_add_f32_e32 v68, v53, v113
	v_sub_f32_e32 v53, v53, v113
	v_dual_add_f32 v73, v131, v141 :: v_dual_add_f32 v76, v62, v63
	v_dual_sub_f32 v62, v63, v62 :: v_dual_sub_f32 v57, v60, v57
	v_dual_sub_f32 v60, v109, v107 :: v_dual_add_f32 v77, v135, v137
	v_dual_add_f32 v110, v74, v72 :: v_dual_sub_f32 v67, v67, v70
	v_dual_sub_f32 v64, v70, v64 :: v_dual_add_f32 v75, v133, v139
	s_delay_alu instid0(VALU_DEP_3)
	v_dual_add_f32 v96, v60, v61 :: v_dual_sub_f32 v63, v137, v135
	v_sub_f32_e32 v112, v74, v72
	v_dual_add_f32 v79, v69, v68 :: v_dual_sub_f32 v74, v76, v74
	v_dual_sub_f32 v109, v60, v61 :: v_dual_add_f32 v70, v70, v78
	v_dual_sub_f32 v60, v53, v60 :: v_dual_sub_f32 v59, v59, v65
	v_sub_f32_e32 v108, v57, v56
	v_dual_sub_f32 v107, v69, v68 :: v_dual_sub_f32 v68, v68, v71
	s_delay_alu instid0(VALU_DEP_3) | instskip(SKIP_1) | instid1(VALU_DEP_4)
	v_dual_sub_f32 v69, v71, v69 :: v_dual_sub_f32 v132, v62, v59
	v_dual_add_f32 v111, v75, v73 :: v_dual_mul_f32 v78, 0x3d64c772, v64
	v_dual_sub_f32 v113, v75, v73 :: v_dual_mul_f32 v108, 0xbf08b237, v108
	v_dual_sub_f32 v72, v72, v76 :: v_dual_sub_f32 v75, v77, v75
	v_dual_add_f32 v76, v76, v110 :: v_dual_mul_f32 v67, 0x3f4a47b2, v67
	v_sub_f32_e32 v65, v133, v139
	v_add_f32_e32 v95, v57, v56
	v_dual_sub_f32 v56, v56, v52 :: v_dual_sub_f32 v61, v61, v53
	v_dual_mul_f32 v68, 0x3f4a47b2, v68 :: v_dual_add_f32 v71, v71, v79
	v_dual_mul_f32 v110, 0x3d64c772, v74 :: v_dual_mul_f32 v79, 0x3d64c772, v69
	v_fmamk_f32 v64, v64, 0x3d64c772, v67
	v_mul_f32_e32 v109, 0xbf08b237, v109
	v_dual_sub_f32 v73, v73, v77 :: v_dual_mul_f32 v134, 0x3f5ff5aa, v56
	v_dual_add_f32 v114, v62, v59 :: v_dual_add_f32 v131, v63, v65
	v_dual_sub_f32 v62, v58, v62 :: v_dual_sub_f32 v57, v52, v57
	v_dual_add_f32 v52, v95, v52 :: v_dual_add_f32 v53, v96, v53
	s_wait_dscnt 0x0
	v_dual_add_f32 v96, v102, v71 :: v_dual_fmamk_f32 v69, v69, 0x3d64c772, v68
	v_fma_f32 v78, 0x3f3bfb3b, v106, -v78
	v_fma_f32 v79, 0x3f3bfb3b, v107, -v79
	;; [unrolled: 1-line block ×6, first 2 shown]
	v_dual_sub_f32 v133, v63, v65 :: v_dual_mul_f32 v72, 0x3f4a47b2, v72
	v_sub_f32_e32 v59, v59, v58
	v_sub_f32_e32 v65, v65, v66
	v_mul_f32_e32 v135, 0x3f5ff5aa, v61
	v_dual_add_f32 v77, v77, v111 :: v_dual_fmamk_f32 v102, v60, 0x3eae86e6, v109
	v_add_f32_e32 v58, v114, v58
	v_dual_sub_f32 v63, v66, v63 :: v_dual_add_f32 v66, v131, v66
	v_dual_add_f32 v95, v101, v70 :: v_dual_add_f32 v56, v103, v76
	v_dual_fmac_f32 v106, 0x3ee1c552, v52 :: v_dual_fmac_f32 v107, 0x3ee1c552, v53
	v_fmamk_f32 v101, v57, 0x3eae86e6, v108
	v_fma_f32 v108, 0xbeae86e6, v57, -v134
	v_mul_f32_e32 v111, 0x3d64c772, v75
	v_mul_f32_e32 v114, 0xbf08b237, v132
	v_mul_f32_e32 v132, 0x3f5ff5aa, v59
	v_fma_f32 v109, 0xbeae86e6, v60, -v135
	v_dual_fmamk_f32 v60, v74, 0x3d64c772, v72 :: v_dual_add_f32 v57, v104, v77
	v_fma_f32 v72, 0xbf3bfb3b, v112, -v72
	v_dual_fmac_f32 v101, 0x3ee1c552, v52 :: v_dual_fmac_f32 v102, 0x3ee1c552, v53
	s_delay_alu instid0(VALU_DEP_4)
	v_dual_fmac_f32 v108, 0x3ee1c552, v52 :: v_dual_fmac_f32 v109, 0x3ee1c552, v53
	v_fmamk_f32 v52, v76, 0xbf955555, v56
	v_mul_f32_e32 v131, 0xbf08b237, v133
	v_mul_f32_e32 v133, 0x3f5ff5aa, v65
	v_fma_f32 v74, 0x3f3bfb3b, v112, -v110
	v_fma_f32 v110, 0x3f5ff5aa, v59, -v114
	s_delay_alu instid0(VALU_DEP_4)
	v_fmamk_f32 v104, v63, 0x3eae86e6, v131
	v_fma_f32 v65, 0x3f5ff5aa, v65, -v131
	v_fma_f32 v112, 0xbeae86e6, v63, -v133
	v_fmamk_f32 v59, v70, 0xbf955555, v95
	v_mul_f32_e32 v73, 0x3f4a47b2, v73
	v_fmac_f32_e32 v104, 0x3ee1c552, v66
	v_fmac_f32_e32 v65, 0x3ee1c552, v66
	;; [unrolled: 1-line block ×3, first 2 shown]
	s_delay_alu instid0(VALU_DEP_4)
	v_dual_add_f32 v66, v78, v59 :: v_dual_fmamk_f32 v61, v75, 0x3d64c772, v73
	v_fma_f32 v75, 0x3f3bfb3b, v113, -v111
	v_fmamk_f32 v103, v62, 0x3eae86e6, v114
	v_fma_f32 v111, 0xbeae86e6, v62, -v132
	v_fma_f32 v73, 0xbf3bfb3b, v113, -v73
	v_dual_fmamk_f32 v62, v71, 0xbf955555, v96 :: v_dual_fmamk_f32 v53, v77, 0xbf955555, v57
	s_delay_alu instid0(VALU_DEP_4)
	v_fmac_f32_e32 v103, 0x3ee1c552, v58
	v_dual_fmac_f32 v110, 0x3ee1c552, v58 :: v_dual_add_f32 v113, v60, v52
	v_add_f32_e32 v131, v74, v52
	v_dual_add_f32 v52, v72, v52 :: v_dual_fmac_f32 v111, 0x3ee1c552, v58
	v_add_f32_e32 v78, v107, v66
	v_add_f32_e32 v58, v64, v59
	;; [unrolled: 1-line block ×5, first 2 shown]
	v_sub_f32_e32 v76, v66, v107
	v_add_f32_e32 v60, v102, v58
	v_sub_f32_e32 v74, v58, v102
	s_delay_alu instid0(VALU_DEP_4)
	v_dual_add_f32 v58, v104, v113 :: v_dual_add_f32 v75, v101, v64
	v_add_f32_e32 v69, v79, v62
	v_dual_add_f32 v67, v68, v62 :: v_dual_sub_f32 v70, v131, v65
	v_add_f32_e32 v62, v109, v59
	v_add_f32_e32 v114, v61, v53
	v_dual_add_f32 v53, v73, v53 :: v_dual_sub_f32 v66, v52, v112
	v_sub_f32_e32 v61, v64, v101
	v_sub_f32_e32 v63, v67, v108
	v_dual_sub_f32 v72, v59, v109 :: v_dual_add_f32 v73, v108, v67
	v_dual_sub_f32 v59, v114, v103 :: v_dual_add_f32 v68, v112, v52
	v_sub_f32_e32 v52, v113, v104
	v_dual_add_f32 v71, v110, v132 :: v_dual_add_f32 v64, v65, v131
	v_add_f32_e32 v77, v106, v69
	v_sub_f32_e32 v79, v69, v106
	v_sub_f32_e32 v69, v53, v111
	;; [unrolled: 1-line block ×3, first 2 shown]
	v_add_f32_e32 v67, v111, v53
	v_add_f32_e32 v53, v103, v114
	ds_store_b64 v121, v[95:96]
	ds_store_2addr_b64 v121, v[56:57], v[60:61] offset0:85 offset1:170
	ds_store_2addr_b64 v97, v[58:59], v[62:63] offset0:127 offset1:212
	;; [unrolled: 1-line block ×6, first 2 shown]
	ds_store_b64 v121, v[52:53] offset:8840
	global_wb scope:SCOPE_SE
	s_wait_dscnt 0x0
	s_barrier_signal -1
	s_barrier_wait -1
	global_inv scope:SCOPE_SE
	s_and_saveexec_b32 s1, vcc_lo
	s_cbranch_execz .LBB0_13
; %bb.12:
	global_load_b64 v[101:102], v115, s[8:9] offset:9520
	s_add_nc_u64 s[2:3], s[8:9], 0x2530
	s_clause 0xf
	global_load_b64 v[113:114], v115, s[2:3] offset:560
	global_load_b64 v[151:152], v115, s[2:3] offset:1120
	;; [unrolled: 1-line block ×16, first 2 shown]
	ds_load_b64 v[103:104], v121
	v_add_nc_u32_e32 v182, 0xc00, v121
	v_add_nc_u32_e32 v183, 0x2000, v121
	s_wait_loadcnt_dscnt 0x1000
	v_mul_f32_e32 v105, v104, v102
	v_mul_f32_e32 v106, v103, v102
	s_delay_alu instid0(VALU_DEP_2) | instskip(NEXT) | instid1(VALU_DEP_2)
	v_fma_f32 v105, v103, v101, -v105
	v_fmac_f32_e32 v106, v104, v101
	ds_store_b64 v121, v[105:106]
	ds_load_2addr_b64 v[101:104], v121 offset0:70 offset1:140
	ds_load_2addr_b64 v[105:108], v97 offset0:82 offset1:152
	;; [unrolled: 1-line block ×8, first 2 shown]
	s_wait_loadcnt_dscnt 0xf07
	v_mul_f32_e32 v181, v101, v114
	s_wait_loadcnt 0xe
	v_dual_mul_f32 v184, v102, v114 :: v_dual_mul_f32 v185, v104, v152
	v_mul_f32_e32 v114, v103, v152
	s_wait_loadcnt_dscnt 0xc06
	v_dual_mul_f32 v186, v106, v154 :: v_dual_mul_f32 v187, v108, v156
	s_wait_loadcnt_dscnt 0xa05
	v_dual_mul_f32 v152, v105, v154 :: v_dual_mul_f32 v189, v112, v160
	v_mul_f32_e32 v154, v107, v156
	v_mul_f32_e32 v188, v110, v158
	s_wait_loadcnt_dscnt 0x804
	v_dual_mul_f32 v156, v109, v158 :: v_dual_mul_f32 v191, v134, v164
	v_mul_f32_e32 v158, v111, v160
	s_wait_loadcnt_dscnt 0x603
	v_dual_mul_f32 v190, v132, v162 :: v_dual_mul_f32 v193, v138, v168
	s_wait_loadcnt_dscnt 0x402
	v_dual_mul_f32 v160, v131, v162 :: v_dual_mul_f32 v195, v142, v172
	v_mul_f32_e32 v162, v133, v164
	s_wait_loadcnt_dscnt 0x201
	v_dual_mul_f32 v192, v136, v166 :: v_dual_mul_f32 v197, v146, v176
	s_wait_loadcnt_dscnt 0x0
	v_dual_mul_f32 v164, v135, v166 :: v_dual_mul_f32 v199, v150, v180
	v_mul_f32_e32 v166, v137, v168
	v_mul_f32_e32 v194, v140, v170
	;; [unrolled: 1-line block ×10, first 2 shown]
	v_fma_f32 v180, v101, v113, -v184
	v_fmac_f32_e32 v181, v102, v113
	v_fma_f32 v113, v103, v151, -v185
	v_fmac_f32_e32 v114, v104, v151
	v_fma_f32 v151, v105, v153, -v186
	v_fmac_f32_e32 v152, v106, v153
	v_fma_f32 v153, v107, v155, -v187
	v_fmac_f32_e32 v154, v108, v155
	v_fma_f32 v155, v109, v157, -v188
	v_fmac_f32_e32 v156, v110, v157
	v_fma_f32 v157, v111, v159, -v189
	v_fmac_f32_e32 v158, v112, v159
	v_fma_f32 v159, v131, v161, -v190
	v_fmac_f32_e32 v160, v132, v161
	v_fma_f32 v161, v133, v163, -v191
	v_fmac_f32_e32 v162, v134, v163
	v_fma_f32 v163, v135, v165, -v192
	v_fmac_f32_e32 v164, v136, v165
	v_fma_f32 v165, v137, v167, -v193
	v_fmac_f32_e32 v166, v138, v167
	v_fma_f32 v167, v139, v169, -v194
	v_fmac_f32_e32 v168, v140, v169
	v_fma_f32 v169, v141, v171, -v195
	v_fmac_f32_e32 v170, v142, v171
	v_fma_f32 v171, v143, v173, -v196
	v_fmac_f32_e32 v172, v144, v173
	v_fma_f32 v173, v145, v175, -v197
	v_fmac_f32_e32 v174, v146, v175
	v_fma_f32 v175, v147, v177, -v198
	v_fmac_f32_e32 v176, v148, v177
	v_fma_f32 v177, v149, v179, -v199
	v_fmac_f32_e32 v178, v150, v179
	ds_store_2addr_b64 v121, v[180:181], v[113:114] offset0:70 offset1:140
	ds_store_2addr_b64 v97, v[151:152], v[153:154] offset0:82 offset1:152
	;; [unrolled: 1-line block ×8, first 2 shown]
.LBB0_13:
	s_wait_alu 0xfffe
	s_or_b32 exec_lo, exec_lo, s1
	global_wb scope:SCOPE_SE
	s_wait_dscnt 0x0
	s_barrier_signal -1
	s_barrier_wait -1
	global_inv scope:SCOPE_SE
	s_and_saveexec_b32 s1, vcc_lo
	s_cbranch_execz .LBB0_15
; %bb.14:
	v_add_nc_u32_e32 v0, 0x2000, v121
	v_add_nc_u32_e32 v52, 0x400, v121
	;; [unrolled: 1-line block ×5, first 2 shown]
	ds_load_b64 v[95:96], v121
	ds_load_2addr_b64 v[60:63], v121 offset0:70 offset1:140
	v_add_nc_u32_e32 v97, 0x1800, v121
	ds_load_2addr_b64 v[0:3], v0 offset0:26 offset1:96
	ds_load_2addr_b64 v[76:79], v52 offset0:82 offset1:152
	;; [unrolled: 1-line block ×7, first 2 shown]
.LBB0_15:
	s_wait_alu 0xfffe
	s_or_b32 exec_lo, exec_lo, s1
	s_wait_dscnt 0x6
	v_dual_sub_f32 v147, v61, v3 :: v_dual_add_f32 v156, v3, v61
	v_dual_add_f32 v131, v2, v60 :: v_dual_sub_f32 v136, v60, v2
	v_dual_add_f32 v158, v1, v63 :: v_dual_sub_f32 v133, v62, v0
	s_delay_alu instid0(VALU_DEP_3) | instskip(NEXT) | instid1(VALU_DEP_4)
	v_dual_mul_f32 v163, 0xbf65296c, v147 :: v_dual_add_f32 v132, v0, v62
	v_dual_mul_f32 v168, 0x3ee437d1, v156 :: v_dual_sub_f32 v149, v63, v1
	s_wait_dscnt 0x0
	s_delay_alu instid0(VALU_DEP_3) | instskip(NEXT) | instid1(VALU_DEP_3)
	v_dual_mul_f32 v170, 0xbf1a4643, v158 :: v_dual_add_f32 v159, v55, v77
	v_fma_f32 v97, 0x3ee437d1, v131, -v163
	s_delay_alu instid0(VALU_DEP_3) | instskip(SKIP_1) | instid1(VALU_DEP_4)
	v_fmamk_f32 v98, v136, 0xbf65296c, v168
	v_add_f32_e32 v134, v54, v76
	v_dual_fmamk_f32 v100, v133, 0xbf4c4adb, v170 :: v_dual_sub_f32 v135, v76, v54
	s_delay_alu instid0(VALU_DEP_4) | instskip(NEXT) | instid1(VALU_DEP_4)
	v_add_f32_e32 v97, v95, v97
	v_dual_mul_f32 v165, 0xbf4c4adb, v149 :: v_dual_add_f32 v98, v96, v98
	v_dual_mul_f32 v173, 0xbf7ba420, v159 :: v_dual_sub_f32 v150, v79, v53
	v_sub_f32_e32 v151, v73, v67
	s_delay_alu instid0(VALU_DEP_3) | instskip(SKIP_2) | instid1(VALU_DEP_2)
	v_fma_f32 v99, 0xbf1a4643, v132, -v165
	v_dual_sub_f32 v148, v77, v55 :: v_dual_add_f32 v137, v52, v78
	v_dual_sub_f32 v138, v78, v52 :: v_dual_add_f32 v161, v67, v73
	v_dual_add_f32 v97, v99, v97 :: v_dual_mul_f32 v164, 0x3e3c28d5, v148
	v_dual_sub_f32 v152, v75, v65 :: v_dual_sub_f32 v153, v57, v71
	s_delay_alu instid0(VALU_DEP_3) | instskip(NEXT) | instid1(VALU_DEP_3)
	v_dual_sub_f32 v140, v72, v66 :: v_dual_mul_f32 v177, 0x3f3d2fb0, v161
	v_fma_f32 v99, 0xbf7ba420, v134, -v164
	v_dual_add_f32 v160, v53, v79 :: v_dual_add_f32 v139, v66, v72
	s_delay_alu instid0(VALU_DEP_4) | instskip(SKIP_1) | instid1(VALU_DEP_4)
	v_mul_f32_e32 v172, 0xbf7ee86f, v153
	v_sub_f32_e32 v154, v59, v69
	v_dual_add_f32 v97, v99, v97 :: v_dual_add_f32 v98, v100, v98
	s_delay_alu instid0(VALU_DEP_4) | instskip(SKIP_4) | instid1(VALU_DEP_4)
	v_mul_f32_e32 v175, 0xbe8c1d8e, v160
	v_fmamk_f32 v100, v135, 0x3e3c28d5, v173
	v_mul_f32_e32 v166, 0x3f763a35, v150
	v_mul_f32_e32 v167, 0x3f2c7751, v151
	v_add_f32_e32 v141, v64, v74
	v_dual_mul_f32 v169, 0xbeb8f4ab, v152 :: v_dual_add_f32 v98, v100, v98
	s_delay_alu instid0(VALU_DEP_4) | instskip(SKIP_3) | instid1(VALU_DEP_3)
	v_fma_f32 v99, 0xbe8c1d8e, v137, -v166
	v_dual_fmamk_f32 v100, v138, 0x3f763a35, v175 :: v_dual_add_f32 v157, v71, v57
	v_add_f32_e32 v143, v70, v56
	v_add_f32_e32 v155, v69, v59
	v_dual_add_f32 v97, v99, v97 :: v_dual_add_f32 v98, v100, v98
	v_fma_f32 v99, 0x3f3d2fb0, v139, -v167
	v_add_f32_e32 v162, v65, v75
	v_fmamk_f32 v100, v140, 0x3f2c7751, v177
	v_dual_mul_f32 v176, 0x3dbcf732, v157 :: v_dual_add_f32 v145, v68, v58
	s_delay_alu instid0(VALU_DEP_3) | instskip(SKIP_4) | instid1(VALU_DEP_3)
	v_dual_add_f32 v97, v99, v97 :: v_dual_mul_f32 v174, 0x3f6eb680, v162
	v_fma_f32 v99, 0x3f6eb680, v141, -v169
	v_sub_f32_e32 v142, v74, v64
	v_add_f32_e32 v98, v100, v98
	v_dual_sub_f32 v146, v58, v68 :: v_dual_mul_f32 v171, 0xbf06c442, v154
	v_dual_add_f32 v97, v99, v97 :: v_dual_fmamk_f32 v100, v142, 0xbeb8f4ab, v174
	v_fma_f32 v99, 0x3dbcf732, v143, -v172
	v_sub_f32_e32 v144, v56, v70
	v_mul_f32_e32 v178, 0xbf59a7d5, v155
	global_wb scope:SCOPE_SE
	s_barrier_signal -1
	v_add_f32_e32 v97, v99, v97
	v_fma_f32 v99, 0xbf59a7d5, v145, -v171
	v_add_f32_e32 v98, v100, v98
	v_fmamk_f32 v100, v144, 0xbf7ee86f, v176
	s_barrier_wait -1
	global_inv scope:SCOPE_SE
	v_dual_add_f32 v97, v99, v97 :: v_dual_add_f32 v98, v100, v98
	v_fmamk_f32 v100, v146, 0xbf06c442, v178
	s_delay_alu instid0(VALU_DEP_1)
	v_add_f32_e32 v98, v100, v98
	s_and_saveexec_b32 s1, vcc_lo
	s_cbranch_execz .LBB0_17
; %bb.16:
	v_mul_f32_e32 v111, 0xbf763a35, v136
	v_dual_mul_f32 v193, 0xbf4c4adb, v133 :: v_dual_mul_f32 v204, 0xbf4c4adb, v146
	v_dual_mul_f32 v198, 0x3f2c7751, v135 :: v_dual_mul_f32 v195, 0x3f2c7751, v148
	s_delay_alu instid0(VALU_DEP_3)
	v_fmamk_f32 v99, v156, 0xbe8c1d8e, v111
	v_mul_f32_e32 v192, 0xbf65296c, v136
	v_mul_f32_e32 v207, 0xbf06c442, v138
	;; [unrolled: 1-line block ×3, first 2 shown]
	v_dual_mul_f32 v197, 0xbeb8f4ab, v153 :: v_dual_mul_f32 v214, 0xbeb8f4ab, v148
	v_dual_add_f32 v99, v96, v99 :: v_dual_mul_f32 v112, 0x3f06c442, v133
	v_fmamk_f32 v104, v155, 0xbf1a4643, v204
	v_fmamk_f32 v101, v159, 0x3f3d2fb0, v198
	v_mul_f32_e32 v200, 0xbe3c28d5, v140
	v_mul_f32_e32 v201, 0xbf763a35, v147
	v_fmamk_f32 v100, v158, 0xbf59a7d5, v112
	v_fma_f32 v105, 0x3f6eb680, v143, -v197
	v_mul_f32_e32 v202, 0x3f7ee86f, v142
	v_mul_f32_e32 v114, 0x3f06c442, v149
	;; [unrolled: 1-line block ×3, first 2 shown]
	v_dual_add_f32 v99, v100, v99 :: v_dual_mul_f32 v182, 0xbf7ba420, v134
	v_fmamk_f32 v100, v160, 0x3ee437d1, v199
	v_mul_f32_e32 v113, 0xbeb8f4ab, v144
	v_fma_f32 v102, 0xbf59a7d5, v132, -v114
	s_delay_alu instid0(VALU_DEP_4) | instskip(SKIP_3) | instid1(VALU_DEP_4)
	v_dual_add_f32 v99, v101, v99 :: v_dual_mul_f32 v190, 0x3f2c7751, v140
	v_fma_f32 v101, 0xbe8c1d8e, v131, -v201
	v_mul_f32_e32 v186, 0x3ee437d1, v131
	v_dual_mul_f32 v187, 0xbeb8f4ab, v142 :: v_dual_mul_f32 v206, 0xbeb8f4ab, v135
	v_dual_add_f32 v99, v100, v99 :: v_dual_fmamk_f32 v100, v161, 0xbf7ba420, v200
	v_mul_f32_e32 v180, 0x3f6eb680, v141
	v_dual_add_f32 v101, v95, v101 :: v_dual_mul_f32 v194, 0x3e3c28d5, v135
	s_delay_alu instid0(VALU_DEP_3) | instskip(SKIP_1) | instid1(VALU_DEP_3)
	v_dual_mul_f32 v196, 0xbf65296c, v150 :: v_dual_add_f32 v99, v100, v99
	v_fmamk_f32 v100, v162, 0x3dbcf732, v202
	v_add_f32_e32 v101, v102, v101
	v_fma_f32 v102, 0x3f3d2fb0, v134, -v195
	v_mul_f32_e32 v203, 0xbe3c28d5, v151
	v_dual_mul_f32 v205, 0x3f7ee86f, v152 :: v_dual_mul_f32 v216, 0x3f7ee86f, v151
	v_dual_add_f32 v99, v100, v99 :: v_dual_fmamk_f32 v100, v157, 0x3f6eb680, v113
	v_mul_f32_e32 v109, 0xbf4c4adb, v136
	v_mul_f32_e32 v211, 0xbf4c4adb, v154
	;; [unrolled: 1-line block ×3, first 2 shown]
	v_dual_mul_f32 v191, 0x3f763a35, v138 :: v_dual_mul_f32 v110, 0x3f763a35, v133
	v_dual_add_f32 v99, v100, v99 :: v_dual_add_f32 v100, v102, v101
	v_fma_f32 v101, 0x3ee437d1, v137, -v196
	v_fmamk_f32 v102, v156, 0xbf1a4643, v109
	v_dual_mul_f32 v217, 0x3f65296c, v146 :: v_dual_mul_f32 v108, 0x3f65296c, v133
	s_delay_alu instid0(VALU_DEP_3) | instskip(NEXT) | instid1(VALU_DEP_3)
	v_dual_mul_f32 v183, 0xbe8c1d8e, v137 :: v_dual_add_f32 v100, v101, v100
	v_add_f32_e32 v102, v96, v102
	v_fma_f32 v101, 0xbf7ba420, v139, -v203
	v_mul_f32_e32 v212, 0x3f763a35, v149
	v_mul_f32_e32 v210, 0xbf2c7751, v142
	v_dual_mul_f32 v219, 0xbf7ee86f, v135 :: v_dual_mul_f32 v228, 0xbf7ee86f, v148
	s_delay_alu instid0(VALU_DEP_4) | instskip(SKIP_4) | instid1(VALU_DEP_4)
	v_add_f32_e32 v100, v101, v100
	v_fma_f32 v101, 0x3dbcf732, v141, -v205
	v_dual_mul_f32 v213, 0xbe3c28d5, v144 :: v_dual_mul_f32 v220, 0xbe3c28d5, v153
	v_fmamk_f32 v106, v155, 0x3ee437d1, v217
	v_mul_f32_e32 v209, 0xbf4c4adb, v147
	v_dual_add_f32 v101, v101, v100 :: v_dual_add_f32 v100, v104, v99
	v_fma_f32 v104, 0xbe8c1d8e, v132, -v212
	v_mul_f32_e32 v215, 0xbf06c442, v150
	v_fma_f32 v222, 0xbf7ba420, v143, -v220
	s_delay_alu instid0(VALU_DEP_4)
	v_add_f32_e32 v99, v105, v101
	v_fma_f32 v105, 0xbf1a4643, v145, -v211
	v_mul_f32_e32 v107, 0xbf06c442, v136
	v_mul_f32_e32 v218, 0xbf2c7751, v152
	;; [unrolled: 1-line block ×4, first 2 shown]
	v_add_f32_e32 v99, v105, v99
	v_fmamk_f32 v105, v158, 0x3ee437d1, v108
	v_fmamk_f32 v103, v158, 0xbe8c1d8e, v110
	v_mul_f32_e32 v181, 0x3f3d2fb0, v139
	v_fmamk_f32 v235, v158, 0x3f6eb680, v233
	v_mul_f32_e32 v223, 0xbeb8f4ab, v140
	v_dual_mul_f32 v225, 0x3f65296c, v154 :: v_dual_mul_f32 v226, 0x3f65296c, v149
	v_add_f32_e32 v102, v103, v102
	v_fmamk_f32 v103, v159, 0x3f6eb680, v206
	v_dual_mul_f32 v227, 0x3f2c7751, v144 :: v_dual_mul_f32 v238, 0x3f2c7751, v138
	s_delay_alu instid0(VALU_DEP_4) | instskip(NEXT) | instid1(VALU_DEP_3)
	v_fma_f32 v229, 0x3ee437d1, v145, -v225
	v_dual_mul_f32 v237, 0x3f2c7751, v153 :: v_dual_add_f32 v102, v103, v102
	v_fmamk_f32 v103, v160, 0xbf59a7d5, v207
	v_fma_f32 v108, 0x3ee437d1, v158, -v108
	v_mul_f32_e32 v241, 0xbf4c4adb, v140
	s_delay_alu instid0(VALU_DEP_4) | instskip(NEXT) | instid1(VALU_DEP_4)
	v_fma_f32 v240, 0x3f3d2fb0, v143, -v237
	v_dual_mul_f32 v234, 0xbe3c28d5, v152 :: v_dual_add_f32 v101, v103, v102
	v_fma_f32 v103, 0xbf1a4643, v131, -v209
	v_mul_f32_e32 v184, 0xbf59a7d5, v145
	v_mul_f32_e32 v244, 0xbf763a35, v144
	;; [unrolled: 1-line block ×3, first 2 shown]
	v_fma_f32 v206, 0x3f6eb680, v159, -v206
	v_dual_add_f32 v103, v95, v103 :: v_dual_mul_f32 v208, 0x3f7ee86f, v140
	v_fma_f32 v111, 0xbe8c1d8e, v156, -v111
	v_fma_f32 v112, 0xbf59a7d5, v158, -v112
	s_delay_alu instid0(VALU_DEP_3) | instskip(NEXT) | instid1(VALU_DEP_4)
	v_dual_sub_f32 v170, v170, v193 :: v_dual_add_f32 v103, v104, v103
	v_fmamk_f32 v102, v161, 0x3dbcf732, v208
	v_mul_f32_e32 v188, 0xbf7ee86f, v144
	v_fma_f32 v104, 0x3f6eb680, v134, -v214
	v_fma_f32 v208, 0x3dbcf732, v161, -v208
	v_add_f32_e32 v111, v96, v111
	v_add_f32_e32 v101, v102, v101
	v_fmamk_f32 v102, v162, 0x3f3d2fb0, v210
	v_fma_f32 v199, 0x3ee437d1, v160, -v199
	v_fmac_f32_e32 v201, 0xbe8c1d8e, v131
	v_add_f32_e32 v111, v112, v111
	v_fma_f32 v112, 0x3f3d2fb0, v159, -v198
	v_dual_add_f32 v101, v102, v101 :: v_dual_fmamk_f32 v102, v157, 0xbf7ba420, v213
	v_fmac_f32_e32 v195, 0x3f3d2fb0, v134
	v_add_f32_e32 v163, v186, v163
	s_delay_alu instid0(VALU_DEP_4) | instskip(NEXT) | instid1(VALU_DEP_4)
	v_dual_add_f32 v111, v112, v111 :: v_dual_mul_f32 v186, 0x3f2c7751, v154
	v_dual_add_f32 v101, v102, v101 :: v_dual_add_f32 v102, v104, v103
	v_fma_f32 v103, 0xbf59a7d5, v137, -v215
	v_fmamk_f32 v104, v156, 0xbf59a7d5, v107
	v_mul_f32_e32 v189, 0xbf06c442, v146
	v_add_f32_e32 v111, v199, v111
	v_fma_f32 v199, 0xbf7ba420, v161, -v200
	v_add_f32_e32 v102, v103, v102
	v_fma_f32 v103, 0x3dbcf732, v139, -v216
	;; [unrolled: 2-line block ×3, first 2 shown]
	v_fmac_f32_e32 v216, 0x3dbcf732, v139
	v_add_f32_e32 v199, v199, v111
	v_add_f32_e32 v102, v103, v102
	v_fma_f32 v103, 0x3f3d2fb0, v141, -v218
	v_dual_add_f32 v104, v105, v104 :: v_dual_fmamk_f32 v105, v159, 0x3dbcf732, v219
	v_fma_f32 v219, 0x3dbcf732, v159, -v219
	v_add_f32_e32 v109, v96, v109
	s_delay_alu instid0(VALU_DEP_4) | instskip(NEXT) | instid1(VALU_DEP_4)
	v_dual_add_f32 v103, v103, v102 :: v_dual_add_f32 v102, v106, v101
	v_dual_add_f32 v104, v105, v104 :: v_dual_fmamk_f32 v105, v160, 0xbf1a4643, v221
	v_fma_f32 v106, 0x3ee437d1, v132, -v226
	s_delay_alu instid0(VALU_DEP_3)
	v_add_f32_e32 v101, v222, v103
	v_mul_f32_e32 v222, 0xbf06c442, v147
	v_fmac_f32_e32 v226, 0x3ee437d1, v132
	v_add_f32_e32 v103, v105, v104
	v_mul_f32_e32 v243, 0x3eb8f4ab, v149
	v_add_f32_e32 v101, v229, v101
	v_fma_f32 v105, 0xbf59a7d5, v131, -v222
	v_fmac_f32_e32 v222, 0xbf59a7d5, v131
	v_fma_f32 v113, 0x3f6eb680, v157, -v113
	v_fma_f32 v245, 0x3f6eb680, v132, -v243
	v_fmac_f32_e32 v215, 0xbf59a7d5, v137
	v_dual_add_f32 v105, v95, v105 :: v_dual_fmamk_f32 v104, v161, 0x3f6eb680, v223
	v_add_f32_e32 v61, v61, v96
	v_fmac_f32_e32 v225, 0x3ee437d1, v145
	v_add_f32_e32 v163, v95, v163
	s_delay_alu instid0(VALU_DEP_4) | instskip(SKIP_4) | instid1(VALU_DEP_4)
	v_add_f32_e32 v105, v106, v105
	v_dual_add_f32 v103, v104, v103 :: v_dual_mul_f32 v224, 0xbe3c28d5, v142
	v_fma_f32 v106, 0x3dbcf732, v134, -v228
	v_add_f32_e32 v200, v95, v201
	v_fma_f32 v201, 0x3dbcf732, v162, -v202
	v_dual_add_f32 v61, v63, v61 :: v_dual_fmamk_f32 v104, v162, 0xbf7ba420, v224
	v_sub_f32_e32 v174, v174, v187
	v_fmac_f32_e32 v203, 0xbf7ba420, v139
	s_delay_alu instid0(VALU_DEP_4) | instskip(SKIP_2) | instid1(VALU_DEP_3)
	v_add_f32_e32 v199, v201, v199
	v_mul_f32_e32 v201, 0xbf7ba420, v158
	v_dual_add_f32 v103, v104, v103 :: v_dual_fmamk_f32 v104, v157, 0x3f3d2fb0, v227
	v_dual_mul_f32 v230, 0x3f4c4adb, v150 :: v_dual_add_f32 v113, v113, v199
	v_add_f32_e32 v61, v77, v61
	v_add_f32_e32 v165, v185, v165
	s_delay_alu instid0(VALU_DEP_4) | instskip(NEXT) | instid1(VALU_DEP_4)
	v_dual_add_f32 v103, v104, v103 :: v_dual_add_f32 v104, v106, v105
	v_fma_f32 v105, 0xbf1a4643, v137, -v230
	s_delay_alu instid0(VALU_DEP_4) | instskip(SKIP_2) | instid1(VALU_DEP_4)
	v_add_f32_e32 v61, v79, v61
	v_dual_fmamk_f32 v199, v133, 0x3e3c28d5, v201 :: v_dual_add_f32 v164, v182, v164
	v_add_f32_e32 v163, v165, v163
	v_dual_add_f32 v104, v105, v104 :: v_dual_mul_f32 v231, 0xbeb8f4ab, v151
	s_delay_alu instid0(VALU_DEP_4) | instskip(SKIP_2) | instid1(VALU_DEP_4)
	v_dual_fmac_f32 v228, 0x3dbcf732, v134 :: v_dual_add_f32 v61, v73, v61
	v_fmac_f32_e32 v205, 0x3dbcf732, v141
	v_dual_fmac_f32 v197, 0x3f6eb680, v143 :: v_dual_add_f32 v172, v179, v172
	v_fma_f32 v105, 0x3f6eb680, v139, -v231
	v_fmac_f32_e32 v230, 0xbf1a4643, v137
	v_add_f32_e32 v61, v75, v61
	v_fmac_f32_e32 v211, 0xbf1a4643, v145
	s_delay_alu instid0(VALU_DEP_4) | instskip(SKIP_4) | instid1(VALU_DEP_4)
	v_dual_mul_f32 v77, 0xbf59a7d5, v157 :: v_dual_add_f32 v104, v105, v104
	v_fma_f32 v105, 0xbf7ba420, v141, -v234
	v_mul_f32_e32 v232, 0xbf763a35, v146
	v_fmac_f32_e32 v218, 0x3f3d2fb0, v141
	v_dual_fmac_f32 v231, 0x3f6eb680, v139 :: v_dual_add_f32 v222, v95, v222
	v_add_f32_e32 v105, v105, v104
	s_delay_alu instid0(VALU_DEP_4) | instskip(SKIP_3) | instid1(VALU_DEP_4)
	v_fmamk_f32 v239, v155, 0xbe8c1d8e, v232
	v_mul_f32_e32 v229, 0xbe3c28d5, v136
	v_dual_add_f32 v57, v57, v61 :: v_dual_fmac_f32 v114, 0xbf59a7d5, v132
	v_fmac_f32_e32 v214, 0x3f6eb680, v134
	v_dual_add_f32 v104, v239, v103 :: v_dual_add_f32 v103, v240, v105
	v_mul_f32_e32 v240, 0xbf763a35, v154
	v_mul_f32_e32 v105, 0xbe3c28d5, v147
	v_dual_mul_f32 v239, 0x3f65296c, v142 :: v_dual_sub_f32 v168, v168, v192
	v_mul_f32_e32 v61, 0xbf7ba420, v155
	s_delay_alu instid0(VALU_DEP_4) | instskip(SKIP_4) | instid1(VALU_DEP_4)
	v_fma_f32 v247, 0xbe8c1d8e, v145, -v240
	v_fmamk_f32 v106, v156, 0xbf7ba420, v229
	v_fma_f32 v242, 0xbf7ba420, v131, -v105
	v_fma_f32 v229, 0xbf7ba420, v156, -v229
	v_add_f32_e32 v163, v164, v163
	v_dual_add_f32 v103, v247, v103 :: v_dual_add_f32 v106, v96, v106
	v_fma_f32 v107, 0xbf59a7d5, v156, -v107
	s_delay_alu instid0(VALU_DEP_4) | instskip(SKIP_2) | instid1(VALU_DEP_3)
	v_dual_add_f32 v242, v95, v242 :: v_dual_add_f32 v229, v96, v229
	v_mul_f32_e32 v246, 0xbf06c442, v148
	v_mul_f32_e32 v247, 0x3f7ee86f, v146
	v_dual_add_f32 v107, v96, v107 :: v_dual_add_f32 v242, v245, v242
	v_add_f32_e32 v106, v235, v106
	s_delay_alu instid0(VALU_DEP_4) | instskip(SKIP_1) | instid1(VALU_DEP_4)
	v_fma_f32 v245, 0xbf59a7d5, v134, -v246
	v_mul_f32_e32 v236, 0xbf06c442, v135
	v_dual_add_f32 v107, v108, v107 :: v_dual_fmamk_f32 v250, v155, 0x3dbcf732, v247
	v_fmac_f32_e32 v220, 0xbf7ba420, v143
	v_fmac_f32_e32 v234, 0xbf7ba420, v141
	s_delay_alu instid0(VALU_DEP_4) | instskip(NEXT) | instid1(VALU_DEP_4)
	v_fmamk_f32 v235, v159, 0xbf59a7d5, v236
	v_add_f32_e32 v107, v219, v107
	v_fma_f32 v219, 0xbf1a4643, v160, -v221
	v_fmac_f32_e32 v212, 0xbe8c1d8e, v132
	v_add_f32_e32 v114, v114, v200
	v_dual_add_f32 v106, v235, v106 :: v_dual_fmamk_f32 v235, v160, 0x3f3d2fb0, v238
	s_delay_alu instid0(VALU_DEP_4) | instskip(SKIP_4) | instid1(VALU_DEP_4)
	v_add_f32_e32 v107, v219, v107
	v_fma_f32 v219, 0x3f6eb680, v161, -v223
	v_fma_f32 v223, 0x3f3d2fb0, v157, -v227
	v_add_f32_e32 v222, v226, v222
	v_dual_add_f32 v106, v235, v106 :: v_dual_fmamk_f32 v235, v161, 0xbf1a4643, v241
	v_add_f32_e32 v107, v219, v107
	v_fma_f32 v219, 0xbf7ba420, v162, -v224
	s_delay_alu instid0(VALU_DEP_4) | instskip(SKIP_2) | instid1(VALU_DEP_4)
	v_add_f32_e32 v222, v228, v222
	v_fma_f32 v233, 0x3f6eb680, v158, -v233
	v_dual_add_f32 v106, v235, v106 :: v_dual_fmamk_f32 v235, v162, 0x3ee437d1, v239
	v_add_f32_e32 v219, v219, v107
	v_fmac_f32_e32 v243, 0x3f6eb680, v132
	s_delay_alu instid0(VALU_DEP_4) | instskip(NEXT) | instid1(VALU_DEP_4)
	v_dual_add_f32 v229, v233, v229 :: v_dual_fmac_f32 v246, 0xbf59a7d5, v134
	v_add_f32_e32 v106, v235, v106
	s_delay_alu instid0(VALU_DEP_4) | instskip(SKIP_4) | instid1(VALU_DEP_4)
	v_add_f32_e32 v219, v223, v219
	v_fma_f32 v223, 0xbe8c1d8e, v158, -v110
	v_fmamk_f32 v235, v157, 0xbe8c1d8e, v244
	v_fmac_f32_e32 v240, 0xbe8c1d8e, v145
	v_dual_fmac_f32 v237, 0x3f3d2fb0, v143 :: v_dual_add_f32 v164, v183, v166
	v_add_f32_e32 v109, v223, v109
	s_delay_alu instid0(VALU_DEP_4)
	v_add_f32_e32 v106, v235, v106
	v_add_f32_e32 v235, v245, v242
	v_fma_f32 v242, 0x3f3d2fb0, v137, -v248
	v_fma_f32 v233, 0xbf59a7d5, v159, -v236
	v_add_f32_e32 v109, v206, v109
	v_fma_f32 v206, 0xbf59a7d5, v160, -v207
	v_mul_f32_e32 v245, 0xbf4c4adb, v151
	v_add_f32_e32 v235, v242, v235
	v_add_f32_e32 v229, v233, v229
	v_fma_f32 v233, 0x3f3d2fb0, v160, -v238
	v_add_f32_e32 v206, v206, v109
	v_fma_f32 v242, 0xbf1a4643, v139, -v245
	v_mul_f32_e32 v249, 0x3f65296c, v152
	s_delay_alu instid0(VALU_DEP_4) | instskip(NEXT) | instid1(VALU_DEP_3)
	v_dual_mul_f32 v238, 0x3f7ee86f, v154 :: v_dual_add_f32 v229, v233, v229
	v_dual_add_f32 v206, v208, v206 :: v_dual_add_f32 v235, v242, v235
	s_delay_alu instid0(VALU_DEP_3)
	v_fma_f32 v236, 0x3ee437d1, v141, -v249
	v_mul_f32_e32 v242, 0xbf763a35, v153
	v_fmac_f32_e32 v105, 0xbf7ba420, v131
	v_fma_f32 v233, 0xbf1a4643, v161, -v241
	v_fma_f32 v208, 0x3f3d2fb0, v162, -v210
	v_add_f32_e32 v235, v236, v235
	v_fma_f32 v236, 0xbe8c1d8e, v143, -v242
	v_dual_add_f32 v241, v95, v105 :: v_dual_fmac_f32 v242, 0xbe8c1d8e, v143
	v_add_f32_e32 v229, v233, v229
	v_fma_f32 v233, 0x3ee437d1, v162, -v239
	s_delay_alu instid0(VALU_DEP_4)
	v_add_f32_e32 v235, v236, v235
	v_fma_f32 v236, 0x3dbcf732, v145, -v238
	v_fmac_f32_e32 v248, 0x3f3d2fb0, v137
	v_add_f32_e32 v206, v208, v206
	v_fma_f32 v208, 0xbf7ba420, v157, -v213
	v_add_f32_e32 v229, v233, v229
	v_add_f32_e32 v105, v236, v235
	;; [unrolled: 1-line block ×3, first 2 shown]
	v_fmac_f32_e32 v238, 0x3dbcf732, v145
	v_dual_add_f32 v206, v208, v206 :: v_dual_fmac_f32 v245, 0xbf1a4643, v139
	v_fmac_f32_e32 v249, 0x3ee437d1, v141
	s_delay_alu instid0(VALU_DEP_4) | instskip(SKIP_2) | instid1(VALU_DEP_3)
	v_dual_add_f32 v235, v246, v235 :: v_dual_add_f32 v114, v195, v114
	v_fmac_f32_e32 v196, 0x3ee437d1, v137
	v_mul_f32_e32 v202, 0x3f6eb680, v160
	v_dual_mul_f32 v210, 0x3eb8f4ab, v150 :: v_dual_add_f32 v235, v248, v235
	v_add_f32_e32 v168, v96, v168
	s_delay_alu instid0(VALU_DEP_4) | instskip(SKIP_3) | instid1(VALU_DEP_3)
	v_add_f32_e32 v114, v196, v114
	v_fma_f32 v196, 0xbf1a4643, v155, -v204
	v_fmac_f32_e32 v209, 0xbf1a4643, v131
	v_dual_add_f32 v221, v245, v235 :: v_dual_mul_f32 v204, 0xbf59a7d5, v162
	v_dual_add_f32 v203, v203, v114 :: v_dual_add_f32 v114, v196, v113
	s_delay_alu instid0(VALU_DEP_3) | instskip(NEXT) | instid1(VALU_DEP_3)
	v_add_f32_e32 v209, v95, v209
	v_add_f32_e32 v221, v249, v221
	v_mul_f32_e32 v196, 0x3ee437d1, v161
	v_fma_f32 v233, 0xbe8c1d8e, v157, -v244
	s_delay_alu instid0(VALU_DEP_4) | instskip(NEXT) | instid1(VALU_DEP_4)
	v_dual_add_f32 v168, v170, v168 :: v_dual_add_f32 v209, v212, v209
	v_dual_add_f32 v221, v242, v221 :: v_dual_sub_f32 v170, v173, v194
	v_dual_add_f32 v163, v164, v163 :: v_dual_mul_f32 v208, 0x3f763a35, v148
	v_mul_f32_e32 v194, 0x3f4c4adb, v153
	s_delay_alu instid0(VALU_DEP_3)
	v_add_f32_e32 v107, v238, v221
	v_add_f32_e32 v221, v230, v222
	v_fma_f32 v222, 0xbe8c1d8e, v155, -v232
	v_add_f32_e32 v168, v170, v168
	v_sub_f32_e32 v170, v175, v191
	v_add_f32_e32 v171, v184, v171
	s_delay_alu instid0(VALU_DEP_4) | instskip(NEXT) | instid1(VALU_DEP_3)
	v_dual_add_f32 v221, v231, v221 :: v_dual_add_f32 v110, v222, v219
	v_dual_add_f32 v57, v59, v57 :: v_dual_add_f32 v168, v170, v168
	s_delay_alu instid0(VALU_DEP_2) | instskip(SKIP_1) | instid1(VALU_DEP_2)
	v_dual_sub_f32 v170, v177, v190 :: v_dual_add_f32 v219, v234, v221
	v_dual_add_f32 v164, v181, v167 :: v_dual_mul_f32 v167, 0xbf7ba420, v160
	v_dual_fmamk_f32 v79, v144, 0x3f06c442, v77 :: v_dual_add_f32 v168, v170, v168
	s_delay_alu instid0(VALU_DEP_3) | instskip(SKIP_1) | instid1(VALU_DEP_2)
	v_dual_add_f32 v207, v237, v219 :: v_dual_mul_f32 v170, 0x3f3d2fb0, v156
	v_dual_add_f32 v69, v69, v57 :: v_dual_mul_f32 v160, 0x3dbcf732, v160
	v_dual_add_f32 v168, v174, v168 :: v_dual_add_f32 v109, v240, v207
	v_dual_add_f32 v207, v214, v209 :: v_dual_mul_f32 v174, 0xbf1a4643, v159
	s_delay_alu instid0(VALU_DEP_4) | instskip(SKIP_2) | instid1(VALU_DEP_4)
	v_fmamk_f32 v165, v136, 0x3f2c7751, v170
	v_fmac_f32_e32 v201, 0xbe3c28d5, v133
	v_mul_f32_e32 v179, 0xbe3c28d5, v150
	v_add_f32_e32 v207, v215, v207
	v_fmac_f32_e32 v77, 0xbf06c442, v144
	v_fmac_f32_e32 v170, 0xbf2c7751, v136
	v_mul_f32_e32 v187, 0x3eb8f4ab, v154
	v_add_f32_e32 v106, v250, v106
	v_dual_add_f32 v198, v216, v207 :: v_dual_add_f32 v229, v233, v229
	v_fma_f32 v207, 0x3ee437d1, v155, -v217
	v_mul_f32_e32 v182, 0x3f3d2fb0, v158
	v_fma_f32 v233, 0x3dbcf732, v155, -v247
	s_delay_alu instid0(VALU_DEP_4)
	v_add_f32_e32 v198, v218, v198
	v_add_f32_e32 v60, v60, v95
	;; [unrolled: 1-line block ×3, first 2 shown]
	v_mul_f32_e32 v184, 0x3ee437d1, v159
	v_mul_f32_e32 v206, 0xbf1a4643, v157
	v_add_f32_e32 v198, v220, v198
	v_add_f32_e32 v108, v233, v229
	v_dual_add_f32 v60, v62, v60 :: v_dual_fmamk_f32 v175, v143, 0xbf1a4643, v194
	s_delay_alu instid0(VALU_DEP_4) | instskip(NEXT) | instid1(VALU_DEP_4)
	v_fmamk_f32 v209, v144, 0xbf4c4adb, v206
	v_dual_add_f32 v111, v225, v198 :: v_dual_mul_f32 v198, 0x3dbcf732, v156
	v_add_f32_e32 v163, v164, v163
	v_add_f32_e32 v164, v180, v169
	v_dual_mul_f32 v169, 0xbf59a7d5, v161 :: v_dual_add_f32 v60, v76, v60
	s_delay_alu instid0(VALU_DEP_4) | instskip(NEXT) | instid1(VALU_DEP_3)
	v_fmamk_f32 v200, v136, 0x3f7ee86f, v198
	v_dual_fmac_f32 v198, 0xbf7ee86f, v136 :: v_dual_add_f32 v163, v164, v163
	v_mul_f32_e32 v62, 0xbf65296c, v148
	s_delay_alu instid0(VALU_DEP_4) | instskip(NEXT) | instid1(VALU_DEP_4)
	v_add_f32_e32 v60, v78, v60
	v_dual_add_f32 v195, v96, v200 :: v_dual_mul_f32 v200, 0xbe8c1d8e, v159
	v_mul_f32_e32 v76, 0xbf7ee86f, v150
	s_delay_alu instid0(VALU_DEP_3) | instskip(NEXT) | instid1(VALU_DEP_3)
	v_dual_mul_f32 v161, 0xbe8c1d8e, v161 :: v_dual_add_f32 v60, v72, v60
	v_add_f32_e32 v195, v199, v195
	s_delay_alu instid0(VALU_DEP_4) | instskip(SKIP_3) | instid1(VALU_DEP_4)
	v_fmamk_f32 v199, v135, 0xbf763a35, v200
	v_fmamk_f32 v73, v134, 0x3ee437d1, v62
	;; [unrolled: 1-line block ×3, first 2 shown]
	v_add_f32_e32 v59, v74, v60
	v_dual_fmamk_f32 v74, v146, 0x3e3c28d5, v61 :: v_dual_add_f32 v113, v199, v195
	v_add_f32_e32 v199, v205, v203
	v_mul_f32_e32 v203, 0xbf7ee86f, v147
	v_fmamk_f32 v195, v138, 0xbeb8f4ab, v202
	v_dual_mul_f32 v205, 0xbe3c28d5, v149 :: v_dual_add_f32 v56, v56, v59
	s_delay_alu instid0(VALU_DEP_4) | instskip(NEXT) | instid1(VALU_DEP_4)
	v_add_f32_e32 v197, v197, v199
	v_fmamk_f32 v199, v131, 0x3dbcf732, v203
	s_delay_alu instid0(VALU_DEP_4) | instskip(SKIP_2) | instid1(VALU_DEP_4)
	v_add_f32_e32 v113, v195, v113
	v_fmamk_f32 v195, v140, 0x3f65296c, v196
	v_fmamk_f32 v207, v132, 0xbf7ba420, v205
	v_dual_fmac_f32 v196, 0xbf65296c, v140 :: v_dual_add_f32 v199, v95, v199
	v_add_f32_e32 v163, v172, v163
	s_delay_alu instid0(VALU_DEP_4) | instskip(SKIP_1) | instid1(VALU_DEP_4)
	v_add_f32_e32 v113, v195, v113
	v_fmamk_f32 v195, v142, 0x3f06c442, v204
	v_dual_mul_f32 v172, 0x3ee437d1, v157 :: v_dual_add_f32 v199, v207, v199
	v_fmamk_f32 v207, v134, 0xbe8c1d8e, v208
	v_dual_add_f32 v165, v96, v165 :: v_dual_add_f32 v56, v58, v56
	s_delay_alu instid0(VALU_DEP_4) | instskip(SKIP_1) | instid1(VALU_DEP_4)
	v_add_f32_e32 v195, v195, v113
	v_add_f32_e32 v113, v211, v197
	v_dual_add_f32 v192, v207, v199 :: v_dual_fmamk_f32 v197, v137, 0x3f6eb680, v210
	v_mul_f32_e32 v199, 0xbf65296c, v151
	v_mul_f32_e32 v207, 0x3f3d2fb0, v155
	;; [unrolled: 1-line block ×3, first 2 shown]
	v_add_f32_e32 v56, v68, v56
	s_delay_alu instid0(VALU_DEP_4) | instskip(SKIP_3) | instid1(VALU_DEP_4)
	v_dual_add_f32 v192, v197, v192 :: v_dual_fmamk_f32 v193, v139, 0x3ee437d1, v199
	v_mul_f32_e32 v197, 0xbf06c442, v152
	v_fmac_f32_e32 v202, 0x3eb8f4ab, v138
	v_fmamk_f32 v181, v136, 0x3eb8f4ab, v156
	v_dual_fmac_f32 v200, 0x3f763a35, v135 :: v_dual_add_f32 v173, v193, v192
	s_delay_alu instid0(VALU_DEP_4) | instskip(NEXT) | instid1(VALU_DEP_3)
	v_fmamk_f32 v193, v141, 0xbf59a7d5, v197
	v_dual_fmac_f32 v156, 0xbeb8f4ab, v136 :: v_dual_add_f32 v181, v96, v181
	v_dual_fmac_f32 v204, 0xbf06c442, v142 :: v_dual_add_f32 v163, v171, v163
	s_delay_alu instid0(VALU_DEP_3)
	v_add_f32_e32 v173, v193, v173
	v_mul_f32_e32 v185, 0x3f65296c, v153
	v_mul_f32_e32 v78, 0xbf763a35, v151
	;; [unrolled: 1-line block ×3, first 2 shown]
	v_fmac_f32_e32 v61, 0xbe3c28d5, v146
	v_add_f32_e32 v173, v175, v173
	v_fmamk_f32 v175, v145, 0x3f3d2fb0, v186
	v_fmac_f32_e32 v206, 0x3f4c4adb, v144
	v_fmamk_f32 v59, v141, 0xbf1a4643, v60
	s_delay_alu instid0(VALU_DEP_3) | instskip(SKIP_4) | instid1(VALU_DEP_4)
	v_add_f32_e32 v191, v175, v173
	v_mul_f32_e32 v173, 0x3dbcf732, v158
	v_dual_sub_f32 v175, v176, v188 :: v_dual_mul_f32 v176, 0xbe8c1d8e, v162
	v_mul_f32_e32 v162, 0xbf1a4643, v162
	v_fmamk_f32 v188, v145, 0x3f6eb680, v187
	v_fmamk_f32 v166, v133, 0x3f7ee86f, v173
	s_delay_alu instid0(VALU_DEP_4) | instskip(SKIP_2) | instid1(VALU_DEP_4)
	v_dual_add_f32 v168, v175, v168 :: v_dual_sub_f32 v175, v178, v189
	v_mul_f32_e32 v178, 0xbf4c4adb, v148
	v_fmac_f32_e32 v173, 0xbf7ee86f, v133
	v_dual_add_f32 v165, v166, v165 :: v_dual_fmamk_f32 v166, v135, 0x3f4c4adb, v174
	s_delay_alu instid0(VALU_DEP_4) | instskip(SKIP_2) | instid1(VALU_DEP_4)
	v_add_f32_e32 v164, v175, v168
	v_mul_f32_e32 v168, 0xbf2c7751, v147
	v_add_f32_e32 v195, v209, v195
	v_dual_fmac_f32 v174, 0xbf4c4adb, v135 :: v_dual_add_f32 v165, v166, v165
	v_fmamk_f32 v166, v138, 0x3e3c28d5, v167
	v_mul_f32_e32 v147, 0xbeb8f4ab, v147
	s_delay_alu instid0(VALU_DEP_2) | instskip(NEXT) | instid1(VALU_DEP_1)
	v_dual_add_f32 v165, v166, v165 :: v_dual_fmamk_f32 v166, v140, 0xbf06c442, v169
	v_add_f32_e32 v165, v166, v165
	v_fmamk_f32 v166, v142, 0xbf763a35, v176
	v_fmac_f32_e32 v176, 0x3f763a35, v142
	v_fmamk_f32 v183, v133, 0x3f2c7751, v182
	v_fmac_f32_e32 v182, 0xbf2c7751, v133
	s_delay_alu instid0(VALU_DEP_4) | instskip(NEXT) | instid1(VALU_DEP_3)
	v_dual_add_f32 v165, v166, v165 :: v_dual_fmamk_f32 v166, v144, 0xbf65296c, v172
	v_add_f32_e32 v181, v183, v181
	v_fmamk_f32 v183, v135, 0x3f65296c, v184
	v_fmac_f32_e32 v184, 0xbf65296c, v135
	s_delay_alu instid0(VALU_DEP_4) | instskip(NEXT) | instid1(VALU_DEP_3)
	v_dual_fmac_f32 v172, 0x3f65296c, v144 :: v_dual_add_f32 v165, v166, v165
	v_dual_mul_f32 v166, 0x3f6eb680, v155 :: v_dual_add_f32 v181, v183, v181
	v_fmamk_f32 v183, v138, 0x3f7ee86f, v160
	v_fmac_f32_e32 v160, 0xbf7ee86f, v138
	s_delay_alu instid0(VALU_DEP_3) | instskip(NEXT) | instid1(VALU_DEP_3)
	v_fmamk_f32 v180, v146, 0xbeb8f4ab, v166
	v_dual_fmac_f32 v166, 0x3eb8f4ab, v146 :: v_dual_add_f32 v181, v183, v181
	v_fmamk_f32 v183, v140, 0x3f763a35, v161
	s_delay_alu instid0(VALU_DEP_1) | instskip(SKIP_1) | instid1(VALU_DEP_1)
	v_add_f32_e32 v181, v183, v181
	v_fmamk_f32 v183, v142, 0x3f4c4adb, v162
	v_dual_fmac_f32 v162, 0xbf4c4adb, v142 :: v_dual_add_f32 v63, v183, v181
	s_delay_alu instid0(VALU_DEP_1) | instskip(NEXT) | instid1(VALU_DEP_1)
	v_add_f32_e32 v63, v79, v63
	v_add_f32_e32 v57, v74, v63
	;; [unrolled: 1-line block ×3, first 2 shown]
	v_mul_f32_e32 v69, 0xbe3c28d5, v154
	s_delay_alu instid0(VALU_DEP_2) | instskip(SKIP_2) | instid1(VALU_DEP_3)
	v_add_f32_e32 v63, v65, v63
	v_add_f32_e32 v65, v70, v56
	v_fmamk_f32 v175, v131, 0x3f3d2fb0, v168
	v_add_f32_e32 v63, v67, v63
	v_add_f32_e32 v67, v96, v198
	s_delay_alu instid0(VALU_DEP_3) | instskip(NEXT) | instid1(VALU_DEP_3)
	v_add_f32_e32 v171, v95, v175
	v_add_f32_e32 v53, v53, v63
	s_delay_alu instid0(VALU_DEP_3) | instskip(NEXT) | instid1(VALU_DEP_2)
	v_add_f32_e32 v63, v201, v67
	v_add_f32_e32 v53, v55, v53
	s_delay_alu instid0(VALU_DEP_2) | instskip(SKIP_2) | instid1(VALU_DEP_4)
	v_add_f32_e32 v63, v200, v63
	v_mul_f32_e32 v177, 0xbf7ee86f, v149
	v_mul_f32_e32 v149, 0xbf2c7751, v149
	v_add_f32_e32 v1, v1, v53
	s_delay_alu instid0(VALU_DEP_3) | instskip(NEXT) | instid1(VALU_DEP_2)
	v_fmamk_f32 v175, v132, 0x3dbcf732, v177
	v_add_f32_e32 v1, v3, v1
	s_delay_alu instid0(VALU_DEP_2) | instskip(SKIP_1) | instid1(VALU_DEP_1)
	v_add_f32_e32 v171, v175, v171
	v_fmamk_f32 v175, v134, 0xbf1a4643, v178
	v_dual_add_f32 v158, v175, v171 :: v_dual_fmamk_f32 v171, v137, 0xbf7ba420, v179
	s_delay_alu instid0(VALU_DEP_1) | instskip(NEXT) | instid1(VALU_DEP_1)
	v_dual_mul_f32 v175, 0x3f06c442, v151 :: v_dual_add_f32 v158, v171, v158
	v_fmamk_f32 v159, v139, 0xbf59a7d5, v175
	s_delay_alu instid0(VALU_DEP_1) | instskip(NEXT) | instid1(VALU_DEP_1)
	v_dual_mul_f32 v171, 0x3f763a35, v152 :: v_dual_add_f32 v158, v159, v158
	v_fmamk_f32 v159, v141, 0xbe8c1d8e, v171
	s_delay_alu instid0(VALU_DEP_1) | instskip(SKIP_1) | instid1(VALU_DEP_1)
	v_add_f32_e32 v158, v159, v158
	v_fmamk_f32 v159, v143, 0x3ee437d1, v185
	v_dual_add_f32 v158, v159, v158 :: v_dual_add_f32 v159, v180, v165
	s_delay_alu instid0(VALU_DEP_1) | instskip(NEXT) | instid1(VALU_DEP_1)
	v_dual_fmamk_f32 v165, v131, 0x3f6eb680, v147 :: v_dual_add_f32 v158, v188, v158
	v_add_f32_e32 v157, v95, v165
	v_fmamk_f32 v165, v132, 0x3f3d2fb0, v149
	v_fmamk_f32 v209, v146, 0xbf2c7751, v207
	s_delay_alu instid0(VALU_DEP_2) | instskip(NEXT) | instid1(VALU_DEP_2)
	v_dual_fmac_f32 v207, 0x3f2c7751, v146 :: v_dual_add_f32 v148, v165, v157
	v_add_f32_e32 v192, v209, v195
	s_delay_alu instid0(VALU_DEP_2) | instskip(NEXT) | instid1(VALU_DEP_1)
	v_add_f32_e32 v73, v73, v148
	v_add_f32_e32 v72, v75, v73
	v_fmamk_f32 v73, v139, 0xbe8c1d8e, v78
	s_delay_alu instid0(VALU_DEP_1) | instskip(NEXT) | instid1(VALU_DEP_1)
	v_dual_add_f32 v72, v73, v72 :: v_dual_mul_f32 v73, 0xbf06c442, v153
	v_add_f32_e32 v58, v59, v72
	s_delay_alu instid0(VALU_DEP_2) | instskip(NEXT) | instid1(VALU_DEP_1)
	v_fmamk_f32 v59, v143, 0xbf59a7d5, v73
	v_dual_add_f32 v58, v59, v58 :: v_dual_fmamk_f32 v59, v145, 0xbf7ba420, v69
	s_delay_alu instid0(VALU_DEP_1) | instskip(SKIP_3) | instid1(VALU_DEP_2)
	v_add_f32_e32 v56, v59, v58
	v_add_f32_e32 v58, v64, v65
	v_fma_f32 v59, 0x3dbcf732, v131, -v203
	v_fmac_f32_e32 v167, 0xbe3c28d5, v138
	v_dual_add_f32 v55, v66, v58 :: v_dual_add_f32 v58, v95, v59
	v_fma_f32 v59, 0xbf7ba420, v132, -v205
	s_delay_alu instid0(VALU_DEP_2) | instskip(SKIP_1) | instid1(VALU_DEP_3)
	v_dual_fmac_f32 v169, 0x3f06c442, v140 :: v_dual_add_f32 v52, v52, v55
	v_fma_f32 v55, 0xbe8c1d8e, v134, -v208
	v_dual_add_f32 v53, v59, v58 :: v_dual_add_f32 v58, v202, v63
	v_fma_f32 v63, 0xbf7ba420, v145, -v69
	s_delay_alu instid0(VALU_DEP_2) | instskip(SKIP_1) | instid1(VALU_DEP_4)
	v_dual_add_f32 v3, v54, v52 :: v_dual_add_f32 v52, v55, v53
	v_fma_f32 v53, 0x3f6eb680, v137, -v210
	v_add_f32_e32 v54, v196, v58
	s_delay_alu instid0(VALU_DEP_3)
	v_add_f32_e32 v0, v0, v3
	v_fma_f32 v55, 0x3dbcf732, v132, -v177
	v_fma_f32 v58, 0x3f3d2fb0, v145, -v186
	v_add_f32_e32 v3, v53, v52
	v_fma_f32 v52, 0x3ee437d1, v139, -v199
	v_add_f32_e32 v53, v204, v54
	v_add_f32_e32 v54, v96, v170
	s_delay_alu instid0(VALU_DEP_3) | instskip(SKIP_1) | instid1(VALU_DEP_3)
	v_dual_add_f32 v0, v2, v0 :: v_dual_add_f32 v3, v52, v3
	v_fma_f32 v52, 0xbf59a7d5, v141, -v197
	v_dual_add_f32 v2, v206, v53 :: v_dual_add_f32 v53, v173, v54
	v_fma_f32 v54, 0x3f3d2fb0, v131, -v168
	s_delay_alu instid0(VALU_DEP_3) | instskip(SKIP_1) | instid1(VALU_DEP_3)
	v_add_f32_e32 v3, v52, v3
	v_fma_f32 v52, 0xbf1a4643, v143, -v194
	v_dual_add_f32 v53, v174, v53 :: v_dual_add_f32 v54, v95, v54
	s_delay_alu instid0(VALU_DEP_1) | instskip(NEXT) | instid1(VALU_DEP_2)
	v_dual_add_f32 v52, v52, v3 :: v_dual_add_f32 v53, v167, v53
	v_add_f32_e32 v54, v55, v54
	v_fma_f32 v55, 0xbf1a4643, v134, -v178
	s_delay_alu instid0(VALU_DEP_3) | instskip(NEXT) | instid1(VALU_DEP_4)
	v_dual_add_f32 v3, v207, v2 :: v_dual_add_f32 v2, v58, v52
	v_add_f32_e32 v52, v169, v53
	s_delay_alu instid0(VALU_DEP_3) | instskip(SKIP_3) | instid1(VALU_DEP_4)
	v_dual_add_f32 v58, v96, v156 :: v_dual_add_f32 v53, v55, v54
	v_fma_f32 v54, 0xbf7ba420, v137, -v179
	v_fma_f32 v55, 0x3f6eb680, v131, -v147
	;; [unrolled: 1-line block ×3, first 2 shown]
	v_add_f32_e32 v58, v182, v58
	s_delay_alu instid0(VALU_DEP_4) | instskip(NEXT) | instid1(VALU_DEP_4)
	v_dual_add_f32 v52, v176, v52 :: v_dual_add_f32 v53, v54, v53
	v_add_f32_e32 v54, v95, v55
	v_fma_f32 v55, 0x3f3d2fb0, v132, -v149
	s_delay_alu instid0(VALU_DEP_4) | instskip(NEXT) | instid1(VALU_DEP_4)
	v_add_f32_e32 v58, v184, v58
	v_dual_add_f32 v52, v172, v52 :: v_dual_add_f32 v53, v59, v53
	v_fma_f32 v59, 0xbe8c1d8e, v141, -v171
	s_delay_alu instid0(VALU_DEP_4) | instskip(SKIP_1) | instid1(VALU_DEP_3)
	v_add_f32_e32 v54, v55, v54
	v_fma_f32 v55, 0x3ee437d1, v134, -v62
	v_dual_add_f32 v58, v160, v58 :: v_dual_add_f32 v53, v59, v53
	v_fma_f32 v59, 0x3ee437d1, v143, -v185
	s_delay_alu instid0(VALU_DEP_3) | instskip(SKIP_2) | instid1(VALU_DEP_4)
	v_add_f32_e32 v54, v55, v54
	v_fma_f32 v55, 0x3dbcf732, v137, -v76
	v_fmac_f32_e32 v161, 0xbf763a35, v140
	v_add_f32_e32 v59, v59, v53
	s_delay_alu instid0(VALU_DEP_3) | instskip(SKIP_1) | instid1(VALU_DEP_4)
	v_add_f32_e32 v54, v55, v54
	v_fma_f32 v55, 0xbe8c1d8e, v139, -v78
	v_add_f32_e32 v58, v161, v58
	s_delay_alu instid0(VALU_DEP_2) | instskip(SKIP_1) | instid1(VALU_DEP_3)
	v_add_f32_e32 v54, v55, v54
	v_fma_f32 v55, 0xbf1a4643, v141, -v60
	v_add_f32_e32 v53, v162, v58
	v_mul_lo_u16 v58, v116, 17
	s_delay_alu instid0(VALU_DEP_3) | instskip(SKIP_1) | instid1(VALU_DEP_3)
	v_add_f32_e32 v54, v55, v54
	v_fma_f32 v55, 0xbf59a7d5, v143, -v73
	v_and_b32_e32 v58, 0xffff, v58
	v_add_f32_e32 v62, v77, v53
	v_fma_f32 v60, 0x3f6eb680, v145, -v187
	s_delay_alu instid0(VALU_DEP_4) | instskip(NEXT) | instid1(VALU_DEP_4)
	v_dual_add_f32 v53, v166, v52 :: v_dual_add_f32 v54, v55, v54
	v_lshl_add_u32 v58, v58, 3, v117
	s_delay_alu instid0(VALU_DEP_3) | instskip(NEXT) | instid1(VALU_DEP_3)
	v_dual_add_f32 v55, v61, v62 :: v_dual_add_f32 v52, v60, v59
	v_add_f32_e32 v54, v63, v54
	ds_store_2addr_b64 v58, v[0:1], v[56:57] offset1:1
	ds_store_2addr_b64 v58, v[158:159], v[163:164] offset0:2 offset1:3
	ds_store_2addr_b64 v58, v[191:192], v[113:114] offset0:4 offset1:5
	;; [unrolled: 1-line block ×7, first 2 shown]
	ds_store_b64 v58, v[54:55] offset:128
.LBB0_17:
	s_wait_alu 0xfffe
	s_or_b32 exec_lo, exec_lo, s1
	v_add_nc_u32_e32 v78, 0xc00, v118
	global_wb scope:SCOPE_SE
	s_wait_dscnt 0x0
	s_barrier_signal -1
	v_add_nc_u32_e32 v0, 0x1000, v118
	s_barrier_wait -1
	global_inv scope:SCOPE_SE
	ds_load_2addr_b64 v[52:55], v78 offset0:126 offset1:211
	v_add_nc_u32_e32 v56, 0x1800, v118
	ds_load_2addr_b64 v[0:3], v0 offset0:168 offset1:253
	ds_load_2addr_b64 v[56:59], v56 offset0:82 offset1:167
	s_wait_dscnt 0x2
	v_dual_mul_f32 v76, v88, v55 :: v_dual_add_nc_u32 v79, 0x1c00, v118
	v_mul_f32_e32 v77, v88, v54
	s_wait_dscnt 0x1
	v_mul_f32_e32 v95, v94, v3
	s_wait_dscnt 0x0
	v_mul_f32_e32 v96, v90, v57
	v_mul_f32_e32 v88, v92, v1
	;; [unrolled: 1-line block ×3, first 2 shown]
	v_fmac_f32_e32 v76, v87, v54
	v_fma_f32 v54, v87, v55, -v77
	v_mul_f32_e32 v55, v86, v58
	v_dual_mul_f32 v90, v90, v56 :: v_dual_fmac_f32 v95, v93, v2
	v_fmac_f32_e32 v88, v91, v0
	v_fma_f32 v0, v91, v1, -v92
	s_delay_alu instid0(VALU_DEP_4) | instskip(SKIP_2) | instid1(VALU_DEP_2)
	v_fma_f32 v55, v85, v59, -v55
	v_mul_f32_e32 v94, v94, v2
	v_mul_f32_e32 v2, v86, v59
	v_fma_f32 v1, v93, v3, -v94
	v_fma_f32 v3, v89, v57, -v90
	v_add_nc_u32_e32 v72, 0x800, v118
	ds_load_2addr_b64 v[60:63], v118 offset1:85
	ds_load_2addr_b64 v[64:67], v118 offset0:170 offset1:255
	ds_load_2addr_b64 v[68:71], v79 offset0:124 offset1:209
	ds_load_2addr_b64 v[72:75], v72 offset0:84 offset1:169
	v_fmac_f32_e32 v96, v89, v56
	v_fmac_f32_e32 v2, v85, v58
	global_wb scope:SCOPE_SE
	s_wait_dscnt 0x0
	s_barrier_signal -1
	s_barrier_wait -1
	global_inv scope:SCOPE_SE
	v_dual_sub_f32 v57, v61, v54 :: v_dual_mul_f32 v86, v84, v69
	v_mul_f32_e32 v56, v84, v68
	v_mul_f32_e32 v84, v82, v71
	;; [unrolled: 1-line block ×3, first 2 shown]
	s_delay_alu instid0(VALU_DEP_4) | instskip(NEXT) | instid1(VALU_DEP_4)
	v_dual_sub_f32 v77, v73, v55 :: v_dual_fmac_f32 v86, v83, v68
	v_fma_f32 v83, v83, v69, -v56
	s_delay_alu instid0(VALU_DEP_4) | instskip(NEXT) | instid1(VALU_DEP_4)
	v_fmac_f32_e32 v84, v81, v70
	v_fma_f32 v81, v81, v71, -v59
	v_sub_f32_e32 v58, v62, v88
	v_dual_sub_f32 v59, v63, v0 :: v_dual_sub_f32 v68, v64, v95
	v_sub_f32_e32 v69, v65, v1
	s_delay_alu instid0(VALU_DEP_4) | instskip(SKIP_3) | instid1(VALU_DEP_4)
	v_dual_sub_f32 v55, v53, v81 :: v_dual_sub_f32 v56, v60, v76
	v_sub_f32_e32 v71, v67, v3
	v_dual_sub_f32 v3, v75, v83 :: v_dual_sub_f32 v70, v66, v96
	v_sub_f32_e32 v76, v72, v2
	v_fma_f32 v60, v60, 2.0, -v56
	v_fma_f32 v61, v61, 2.0, -v57
	v_sub_f32_e32 v2, v74, v86
	v_sub_f32_e32 v54, v52, v84
	v_fma_f32 v62, v62, 2.0, -v58
	v_fma_f32 v63, v63, 2.0, -v59
	;; [unrolled: 1-line block ×12, first 2 shown]
	ds_store_2addr_b64 v126, v[60:61], v[56:57] offset1:17
	ds_store_2addr_b64 v128, v[62:63], v[58:59] offset1:17
	;; [unrolled: 1-line block ×7, first 2 shown]
	v_add_nc_u32_e32 v60, 0x400, v118
	v_add_nc_u32_e32 v76, 0x1400, v118
	global_wb scope:SCOPE_SE
	s_wait_dscnt 0x0
	s_barrier_signal -1
	s_barrier_wait -1
	global_inv scope:SCOPE_SE
	ds_load_2addr_b64 v[56:59], v118 offset1:85
	ds_load_2addr_b64 v[72:75], v60 offset0:110 offset1:195
	ds_load_2addr_b64 v[68:71], v78 offset0:92 offset1:177
	;; [unrolled: 1-line block ×4, first 2 shown]
	s_and_saveexec_b32 s1, s0
	s_cbranch_execz .LBB0_19
; %bb.18:
	v_add_nc_u32_e32 v0, 0x500, v118
	ds_load_2addr_b64 v[52:55], v76 offset0:6 offset1:244
	ds_load_2addr_b64 v[0:3], v0 offset0:10 offset1:248
	ds_load_b64 v[97:98], v118 offset:8976
.LBB0_19:
	s_wait_alu 0xfffe
	s_or_b32 exec_lo, exec_lo, s1
	s_wait_dscnt 0x3
	v_mul_f32_e32 v76, v25, v73
	s_wait_dscnt 0x2
	v_dual_mul_f32 v77, v25, v72 :: v_dual_mul_f32 v78, v27, v69
	v_mul_f32_e32 v27, v27, v68
	s_delay_alu instid0(VALU_DEP_3) | instskip(NEXT) | instid1(VALU_DEP_3)
	v_dual_fmac_f32 v76, v24, v72 :: v_dual_add_nc_u32 v25, 0x2a8, v121
	v_fma_f32 v24, v24, v73, -v77
	s_wait_dscnt 0x0
	v_dual_mul_f32 v73, v23, v61 :: v_dual_fmac_f32 v78, v26, v68
	v_mul_f32_e32 v72, v21, v65
	v_mul_f32_e32 v21, v21, v64
	v_fma_f32 v26, v26, v69, -v27
	s_delay_alu instid0(VALU_DEP_4) | instskip(NEXT) | instid1(VALU_DEP_4)
	v_fmac_f32_e32 v73, v22, v60
	v_dual_mul_f32 v69, v13, v67 :: v_dual_fmac_f32 v72, v20, v64
	v_mul_f32_e32 v64, v17, v75
	v_mul_f32_e32 v17, v17, v74
	global_wb scope:SCOPE_SE
	s_barrier_signal -1
	s_barrier_wait -1
	v_fmac_f32_e32 v64, v16, v74
	v_fma_f32 v27, v20, v65, -v21
	v_mul_f32_e32 v65, v19, v71
	v_mul_f32_e32 v20, v23, v60
	;; [unrolled: 1-line block ×3, first 2 shown]
	global_inv scope:SCOPE_SE
	v_sub_f32_e32 v21, v26, v27
	v_fmac_f32_e32 v65, v18, v70
	v_fma_f32 v60, v22, v61, -v20
	v_fma_f32 v61, v16, v75, -v17
	v_add_f32_e32 v16, v78, v72
	v_fma_f32 v68, v18, v71, -v19
	v_dual_mul_f32 v17, v13, v66 :: v_dual_mul_f32 v70, v15, v63
	v_add_f32_e32 v18, v56, v76
	s_delay_alu instid0(VALU_DEP_4) | instskip(SKIP_4) | instid1(VALU_DEP_4)
	v_fma_f32 v13, -0.5, v16, v56
	v_sub_f32_e32 v19, v24, v60
	v_dual_fmac_f32 v69, v12, v66 :: v_dual_sub_f32 v20, v73, v72
	v_fma_f32 v12, v12, v67, -v17
	v_fmac_f32_e32 v70, v14, v62
	v_dual_add_f32 v17, v18, v78 :: v_dual_fmamk_f32 v16, v19, 0xbf737871, v13
	v_sub_f32_e32 v18, v76, v78
	v_dual_add_f32 v22, v76, v73 :: v_dual_mul_f32 v15, v15, v62
	s_delay_alu instid0(VALU_DEP_3) | instskip(NEXT) | instid1(VALU_DEP_3)
	v_dual_add_f32 v17, v17, v72 :: v_dual_fmac_f32 v16, 0xbf167918, v21
	v_add_f32_e32 v23, v18, v20
	s_delay_alu instid0(VALU_DEP_3)
	v_fma_f32 v18, -0.5, v22, v56
	v_fmac_f32_e32 v13, 0x3f737871, v19
	v_fma_f32 v15, v14, v63, -v15
	v_add_f32_e32 v20, v17, v73
	v_dual_fmac_f32 v16, 0x3e9e377a, v23 :: v_dual_sub_f32 v17, v72, v73
	v_fmamk_f32 v22, v21, 0x3f737871, v18
	v_dual_sub_f32 v14, v78, v76 :: v_dual_fmac_f32 v13, 0x3f167918, v21
	v_add_f32_e32 v56, v57, v24
	v_add_f32_e32 v62, v26, v27
	s_delay_alu instid0(VALU_DEP_3) | instskip(NEXT) | instid1(VALU_DEP_4)
	v_dual_fmac_f32 v22, 0xbf167918, v19 :: v_dual_add_f32 v63, v14, v17
	v_fmac_f32_e32 v13, 0x3e9e377a, v23
	s_delay_alu instid0(VALU_DEP_4) | instskip(NEXT) | instid1(VALU_DEP_4)
	v_dual_add_f32 v17, v56, v26 :: v_dual_fmac_f32 v18, 0xbf737871, v21
	v_fma_f32 v14, -0.5, v62, v57
	v_sub_f32_e32 v56, v76, v73
	s_delay_alu instid0(VALU_DEP_3) | instskip(NEXT) | instid1(VALU_DEP_4)
	v_dual_sub_f32 v62, v78, v72 :: v_dual_add_f32 v21, v17, v27
	v_dual_fmac_f32 v18, 0x3f167918, v19 :: v_dual_add_f32 v19, v24, v60
	v_dual_fmac_f32 v22, 0x3e9e377a, v63 :: v_dual_sub_f32 v23, v24, v26
	s_delay_alu instid0(VALU_DEP_4) | instskip(SKIP_1) | instid1(VALU_DEP_4)
	v_fmamk_f32 v17, v56, 0x3f737871, v14
	v_sub_f32_e32 v66, v60, v27
	v_fma_f32 v19, -0.5, v19, v57
	v_add_f32_e32 v21, v21, v60
	v_fmac_f32_e32 v14, 0xbf737871, v56
	v_fmac_f32_e32 v17, 0x3f167918, v62
	v_dual_fmac_f32 v18, 0x3e9e377a, v63 :: v_dual_add_f32 v57, v23, v66
	v_fmamk_f32 v23, v62, 0xbf737871, v19
	v_sub_f32_e32 v24, v26, v24
	v_dual_sub_f32 v26, v27, v60 :: v_dual_add_f32 v27, v65, v69
	s_delay_alu instid0(VALU_DEP_4) | instskip(SKIP_1) | instid1(VALU_DEP_3)
	v_fmac_f32_e32 v17, 0x3e9e377a, v57
	v_dual_fmac_f32 v14, 0xbf167918, v62 :: v_dual_sub_f32 v63, v61, v15
	v_dual_fmac_f32 v23, 0x3f167918, v56 :: v_dual_add_f32 v24, v24, v26
	v_dual_fmac_f32 v19, 0x3f737871, v62 :: v_dual_add_f32 v60, v58, v64
	v_fma_f32 v26, -0.5, v27, v58
	s_delay_alu instid0(VALU_DEP_3) | instskip(NEXT) | instid1(VALU_DEP_3)
	v_dual_fmac_f32 v14, 0x3e9e377a, v57 :: v_dual_fmac_f32 v23, 0x3e9e377a, v24
	v_fmac_f32_e32 v19, 0xbf167918, v56
	s_delay_alu instid0(VALU_DEP_3) | instskip(SKIP_2) | instid1(VALU_DEP_3)
	v_dual_add_f32 v27, v60, v65 :: v_dual_fmamk_f32 v56, v63, 0xbf737871, v26
	v_dual_sub_f32 v57, v68, v12 :: v_dual_sub_f32 v62, v70, v69
	v_sub_f32_e32 v60, v64, v65
	v_dual_fmac_f32 v26, 0x3f737871, v63 :: v_dual_add_f32 v27, v27, v69
	v_dual_add_f32 v66, v64, v70 :: v_dual_fmac_f32 v19, 0x3e9e377a, v24
	s_delay_alu instid0(VALU_DEP_4) | instskip(NEXT) | instid1(VALU_DEP_4)
	v_dual_fmac_f32 v56, 0xbf167918, v57 :: v_dual_sub_f32 v67, v69, v70
	v_add_f32_e32 v62, v60, v62
	s_delay_alu instid0(VALU_DEP_4) | instskip(NEXT) | instid1(VALU_DEP_4)
	v_fmac_f32_e32 v26, 0x3f167918, v57
	v_fma_f32 v58, -0.5, v66, v58
	v_sub_f32_e32 v66, v65, v64
	s_delay_alu instid0(VALU_DEP_4) | instskip(SKIP_3) | instid1(VALU_DEP_3)
	v_dual_sub_f32 v65, v65, v69 :: v_dual_fmac_f32 v56, 0x3e9e377a, v62
	v_add_f32_e32 v24, v68, v12
	v_add_f32_e32 v60, v27, v70
	v_fmac_f32_e32 v26, 0x3e9e377a, v62
	v_fma_f32 v27, -0.5, v24, v59
	v_sub_f32_e32 v24, v64, v70
	v_add_f32_e32 v64, v66, v67
	v_add_f32_e32 v66, v61, v15
	v_fmamk_f32 v62, v57, 0x3f737871, v58
	v_fmac_f32_e32 v58, 0xbf737871, v57
	v_add_f32_e32 v57, v59, v61
	v_sub_f32_e32 v67, v15, v12
	s_delay_alu instid0(VALU_DEP_4) | instskip(NEXT) | instid1(VALU_DEP_3)
	v_dual_fmac_f32 v59, -0.5, v66 :: v_dual_fmac_f32 v62, 0xbf167918, v63
	v_dual_fmac_f32 v58, 0x3f167918, v63 :: v_dual_add_f32 v63, v57, v68
	v_dual_sub_f32 v66, v61, v68 :: v_dual_sub_f32 v61, v68, v61
	s_delay_alu instid0(VALU_DEP_3) | instskip(NEXT) | instid1(VALU_DEP_2)
	v_fmac_f32_e32 v62, 0x3e9e377a, v64
	v_add_f32_e32 v66, v66, v67
	s_delay_alu instid0(VALU_DEP_4) | instskip(SKIP_4) | instid1(VALU_DEP_4)
	v_fmac_f32_e32 v58, 0x3e9e377a, v64
	v_dual_add_f32 v64, v63, v12 :: v_dual_fmamk_f32 v63, v65, 0xbf737871, v59
	v_fmamk_f32 v57, v24, 0x3f737871, v27
	v_dual_fmac_f32 v27, 0xbf737871, v24 :: v_dual_sub_f32 v12, v12, v15
	v_fmac_f32_e32 v59, 0x3f737871, v65
	v_fmac_f32_e32 v63, 0x3f167918, v24
	s_delay_alu instid0(VALU_DEP_4) | instskip(NEXT) | instid1(VALU_DEP_4)
	v_fmac_f32_e32 v57, 0x3f167918, v65
	v_dual_fmac_f32 v27, 0xbf167918, v65 :: v_dual_add_f32 v12, v61, v12
	s_delay_alu instid0(VALU_DEP_4) | instskip(NEXT) | instid1(VALU_DEP_2)
	v_fmac_f32_e32 v59, 0xbf167918, v24
	v_fmac_f32_e32 v63, 0x3e9e377a, v12
	s_delay_alu instid0(VALU_DEP_3)
	v_fmac_f32_e32 v27, 0x3e9e377a, v66
	v_add_f32_e32 v61, v64, v15
	v_fmac_f32_e32 v57, 0x3e9e377a, v66
	v_fmac_f32_e32 v59, 0x3e9e377a, v12
	ds_store_2addr_b64 v130, v[20:21], v[16:17] offset1:34
	ds_store_2addr_b64 v130, v[22:23], v[18:19] offset0:68 offset1:102
	ds_store_b64 v130, v[13:14] offset:1088
	ds_store_2addr_b64 v129, v[60:61], v[56:57] offset1:34
	ds_store_2addr_b64 v129, v[62:63], v[58:59] offset0:68 offset1:102
	ds_store_b64 v129, v[26:27] offset:1088
	s_and_saveexec_b32 s1, s0
	s_cbranch_execz .LBB0_21
; %bb.20:
	v_dual_mul_f32 v12, v11, v52 :: v_dual_mul_f32 v13, v9, v2
	v_dual_mul_f32 v14, v7, v97 :: v_dual_mul_f32 v15, v5, v54
	;; [unrolled: 1-line block ×3, first 2 shown]
	s_delay_alu instid0(VALU_DEP_3) | instskip(NEXT) | instid1(VALU_DEP_3)
	v_fma_f32 v13, v8, v3, -v13
	v_fma_f32 v14, v6, v98, -v14
	;; [unrolled: 1-line block ×3, first 2 shown]
	v_dual_mul_f32 v17, v9, v3 :: v_dual_mul_f32 v18, v7, v98
	v_fmac_f32_e32 v11, v10, v52
	s_delay_alu instid0(VALU_DEP_4) | instskip(SKIP_1) | instid1(VALU_DEP_4)
	v_dual_add_f32 v3, v14, v13 :: v_dual_fmac_f32 v16, v4, v54
	v_fma_f32 v10, v4, v55, -v15
	v_dual_fmac_f32 v17, v8, v2 :: v_dual_fmac_f32 v18, v6, v97
	s_delay_alu instid0(VALU_DEP_3) | instskip(NEXT) | instid1(VALU_DEP_4)
	v_fma_f32 v3, -0.5, v3, v1
	v_dual_sub_f32 v2, v12, v13 :: v_dual_sub_f32 v15, v11, v16
	s_delay_alu instid0(VALU_DEP_4) | instskip(NEXT) | instid1(VALU_DEP_4)
	v_sub_f32_e32 v4, v10, v14
	v_dual_sub_f32 v19, v17, v18 :: v_dual_add_f32 v6, v18, v17
	v_sub_f32_e32 v21, v12, v10
	s_delay_alu instid0(VALU_DEP_3) | instskip(SKIP_1) | instid1(VALU_DEP_4)
	v_dual_fmamk_f32 v5, v15, 0xbf737871, v3 :: v_dual_add_f32 v20, v4, v2
	v_dual_sub_f32 v9, v13, v12 :: v_dual_add_f32 v24, v16, v11
	v_fma_f32 v2, -0.5, v6, v0
	s_delay_alu instid0(VALU_DEP_3) | instskip(SKIP_2) | instid1(VALU_DEP_2)
	v_dual_fmac_f32 v5, 0x3f167918, v19 :: v_dual_sub_f32 v6, v11, v17
	v_sub_f32_e32 v8, v16, v18
	v_sub_f32_e32 v23, v14, v10
	v_dual_fmac_f32 v5, 0x3e9e377a, v20 :: v_dual_add_f32 v26, v8, v6
	v_fma_f32 v6, -0.5, v24, v0
	v_dual_sub_f32 v24, v17, v11 :: v_dual_add_f32 v7, v10, v12
	v_fmamk_f32 v4, v21, 0x3f737871, v2
	v_add_f32_e32 v0, v0, v17
	v_dual_sub_f32 v22, v13, v14 :: v_dual_add_f32 v23, v23, v9
	s_delay_alu instid0(VALU_DEP_4) | instskip(NEXT) | instid1(VALU_DEP_3)
	v_fma_f32 v7, -0.5, v7, v1
	v_dual_add_f32 v1, v13, v1 :: v_dual_add_f32 v0, v11, v0
	s_delay_alu instid0(VALU_DEP_3) | instskip(SKIP_1) | instid1(VALU_DEP_4)
	v_fmac_f32_e32 v4, 0xbf167918, v22
	v_fmamk_f32 v8, v22, 0xbf737871, v6
	v_fmamk_f32 v9, v19, 0x3f737871, v7
	s_delay_alu instid0(VALU_DEP_4) | instskip(SKIP_2) | instid1(VALU_DEP_4)
	v_add_f32_e32 v1, v12, v1
	v_sub_f32_e32 v13, v18, v16
	v_dual_fmac_f32 v3, 0x3f737871, v15 :: v_dual_fmac_f32 v6, 0x3f737871, v22
	v_fmac_f32_e32 v9, 0x3f167918, v15
	s_delay_alu instid0(VALU_DEP_4) | instskip(SKIP_4) | instid1(VALU_DEP_4)
	v_dual_add_f32 v1, v10, v1 :: v_dual_add_f32 v0, v16, v0
	v_and_b32_e32 v10, 0xffff, v120
	v_dual_fmac_f32 v7, 0xbf737871, v19 :: v_dual_fmac_f32 v2, 0xbf737871, v21
	v_dual_fmac_f32 v8, 0xbf167918, v21 :: v_dual_add_f32 v11, v13, v24
	v_fmac_f32_e32 v4, 0x3e9e377a, v26
	v_mul_u32_u24_e32 v10, 0xaa, v10
	v_fmac_f32_e32 v3, 0xbf167918, v19
	v_fmac_f32_e32 v7, 0xbf167918, v15
	;; [unrolled: 1-line block ×4, first 2 shown]
	s_delay_alu instid0(VALU_DEP_4) | instskip(SKIP_2) | instid1(VALU_DEP_3)
	v_dual_fmac_f32 v3, 0x3e9e377a, v20 :: v_dual_add_nc_u32 v10, v10, v119
	v_dual_fmac_f32 v9, 0x3e9e377a, v23 :: v_dual_add_f32 v0, v18, v0
	v_dual_fmac_f32 v8, 0x3e9e377a, v11 :: v_dual_add_f32 v1, v14, v1
	v_lshl_add_u32 v10, v10, 3, v117
	v_dual_fmac_f32 v7, 0x3e9e377a, v23 :: v_dual_fmac_f32 v2, 0x3e9e377a, v26
	v_fmac_f32_e32 v6, 0x3e9e377a, v11
	ds_store_2addr_b64 v10, v[0:1], v[8:9] offset1:34
	ds_store_2addr_b64 v10, v[4:5], v[2:3] offset0:68 offset1:102
	ds_store_b64 v10, v[6:7] offset:1088
.LBB0_21:
	s_wait_alu 0xfffe
	s_or_b32 exec_lo, exec_lo, s1
	v_add_nc_u32_e32 v4, 0x800, v118
	v_add_nc_u32_e32 v8, 0xc00, v118
	;; [unrolled: 1-line block ×4, first 2 shown]
	global_wb scope:SCOPE_SE
	s_wait_dscnt 0x0
	s_barrier_signal -1
	s_barrier_wait -1
	global_inv scope:SCOPE_SE
	ds_load_2addr_b64 v[0:3], v118 offset0:170 offset1:255
	ds_load_2addr_b64 v[4:7], v4 offset0:84 offset1:169
	ds_load_2addr_b64 v[8:11], v8 offset0:126 offset1:211
	ds_load_2addr_b64 v[12:15], v12 offset0:168 offset1:253
	ds_load_2addr_b64 v[16:19], v16 offset0:82 offset1:167
	v_add_nc_u32_e32 v20, 0x1c00, v118
	s_wait_dscnt 0x4
	v_mul_f32_e32 v24, v45, v1
	v_mul_f32_e32 v26, v45, v0
	s_wait_dscnt 0x0
	v_mul_f32_e32 v45, v29, v17
	ds_load_2addr_b64 v[20:23], v20 offset0:124 offset1:209
	ds_load_2addr_b64 v[52:55], v118 offset1:85
	v_dual_mul_f32 v27, v41, v9 :: v_dual_fmac_f32 v24, v44, v0
	v_fma_f32 v0, v44, v1, -v26
	v_mul_f32_e32 v1, v47, v5
	v_mul_f32_e32 v26, v47, v4
	v_dual_mul_f32 v41, v41, v8 :: v_dual_mul_f32 v44, v43, v13
	v_fmac_f32_e32 v27, v40, v8
	v_mul_f32_e32 v43, v43, v12
	v_fmac_f32_e32 v1, v46, v4
	v_fma_f32 v4, v46, v5, -v26
	v_fma_f32 v5, v40, v9, -v41
	v_fmac_f32_e32 v44, v42, v12
	v_fma_f32 v8, v42, v13, -v43
	v_fmac_f32_e32 v45, v28, v16
	v_mul_f32_e32 v9, v29, v16
	v_mul_f32_e32 v16, v49, v3
	;; [unrolled: 1-line block ×3, first 2 shown]
	s_wait_dscnt 0x1
	v_mul_f32_e32 v12, v31, v21
	v_mul_f32_e32 v13, v31, v20
	v_dual_mul_f32 v31, v35, v23 :: v_dual_fmac_f32 v16, v48, v2
	v_fma_f32 v9, v28, v17, -v9
	v_fma_f32 v17, v48, v3, -v26
	s_delay_alu instid0(VALU_DEP_4) | instskip(SKIP_4) | instid1(VALU_DEP_2)
	v_fma_f32 v13, v30, v21, -v13
	v_fmac_f32_e32 v12, v30, v20
	v_dual_mul_f32 v20, v51, v7 :: v_dual_fmac_f32 v31, v34, v22
	v_dual_mul_f32 v2, v51, v6 :: v_dual_mul_f32 v21, v37, v11
	v_dual_mul_f32 v3, v37, v10 :: v_dual_mul_f32 v26, v39, v15
	v_fma_f32 v28, v50, v7, -v2
	s_delay_alu instid0(VALU_DEP_3) | instskip(NEXT) | instid1(VALU_DEP_3)
	v_fmac_f32_e32 v21, v36, v10
	v_fma_f32 v29, v36, v11, -v3
	v_mul_f32_e32 v2, v39, v14
	v_mul_f32_e32 v3, v33, v18
	v_fmac_f32_e32 v20, v50, v6
	v_add_f32_e32 v10, v4, v9
	v_dual_sub_f32 v4, v4, v9 :: v_dual_add_f32 v9, v27, v44
	v_mul_f32_e32 v30, v33, v19
	v_add_f32_e32 v7, v1, v45
	v_dual_sub_f32 v1, v1, v45 :: v_dual_fmac_f32 v26, v38, v14
	s_delay_alu instid0(VALU_DEP_3)
	v_dual_add_f32 v11, v5, v8 :: v_dual_fmac_f32 v30, v32, v18
	v_fma_f32 v18, v32, v19, -v3
	v_dual_add_f32 v3, v0, v13 :: v_dual_mul_f32 v6, v35, v22
	v_sub_f32_e32 v5, v8, v5
	v_fma_f32 v15, v38, v15, -v2
	v_add_f32_e32 v2, v24, v12
	s_delay_alu instid0(VALU_DEP_4) | instskip(SKIP_2) | instid1(VALU_DEP_4)
	v_dual_sub_f32 v0, v0, v13 :: v_dual_add_f32 v13, v10, v3
	v_fma_f32 v19, v34, v23, -v6
	v_sub_f32_e32 v6, v24, v12
	v_sub_f32_e32 v14, v7, v2
	;; [unrolled: 1-line block ×6, first 2 shown]
	v_dual_add_f32 v8, v7, v2 :: v_dual_sub_f32 v7, v9, v7
	v_sub_f32_e32 v23, v2, v9
	v_dual_mul_f32 v3, 0x3f4a47b2, v3 :: v_dual_sub_f32 v32, v5, v4
	s_delay_alu instid0(VALU_DEP_3) | instskip(NEXT) | instid1(VALU_DEP_3)
	v_dual_add_f32 v8, v9, v8 :: v_dual_add_f32 v9, v11, v13
	v_dual_mul_f32 v11, 0x3f4a47b2, v23 :: v_dual_add_f32 v24, v5, v4
	v_mul_f32_e32 v13, 0x3d64c772, v7
	v_mul_f32_e32 v23, 0x3d64c772, v10
	v_sub_f32_e32 v27, v12, v1
	s_delay_alu instid0(VALU_DEP_4)
	v_dual_fmamk_f32 v7, v7, 0x3d64c772, v11 :: v_dual_add_f32 v2, v12, v1
	v_sub_f32_e32 v33, v1, v6
	v_sub_f32_e32 v5, v0, v5
	;; [unrolled: 1-line block ×3, first 2 shown]
	v_add_f32_e32 v0, v24, v0
	s_wait_dscnt 0x0
	v_dual_add_f32 v1, v52, v8 :: v_dual_mul_f32 v24, 0x3f08b237, v27
	v_mul_f32_e32 v27, 0x3f08b237, v32
	v_sub_f32_e32 v12, v6, v12
	v_fmamk_f32 v10, v10, 0x3d64c772, v3
	s_delay_alu instid0(VALU_DEP_4)
	v_fmamk_f32 v8, v8, 0xbf955555, v1
	v_add_f32_e32 v6, v2, v6
	v_fma_f32 v23, 0x3f3bfb3b, v22, -v23
	v_fma_f32 v11, 0xbf3bfb3b, v14, -v11
	v_add_f32_e32 v2, v53, v9
	v_fma_f32 v3, 0xbf3bfb3b, v22, -v3
	v_fmamk_f32 v22, v5, 0xbeae86e6, v27
	v_fma_f32 v13, 0x3f3bfb3b, v14, -v13
	v_add_f32_e32 v11, v11, v8
	v_mul_f32_e32 v34, 0xbf5ff5aa, v4
	v_fmamk_f32 v9, v9, 0xbf955555, v2
	v_fmamk_f32 v14, v12, 0xbeae86e6, v24
	v_fma_f32 v24, 0xbf5ff5aa, v33, -v24
	v_fmac_f32_e32 v22, 0xbee1c552, v0
	v_dual_mul_f32 v32, 0xbf5ff5aa, v33 :: v_dual_add_f32 v33, v7, v8
	s_delay_alu instid0(VALU_DEP_1)
	v_fma_f32 v12, 0x3eae86e6, v12, -v32
	v_fma_f32 v32, 0x3eae86e6, v5, -v34
	v_add_f32_e32 v34, v10, v9
	v_dual_add_f32 v10, v13, v8 :: v_dual_add_f32 v13, v23, v9
	v_add_f32_e32 v23, v3, v9
	v_add_f32_e32 v3, v22, v33
	v_fma_f32 v27, 0xbf5ff5aa, v4, -v27
	s_delay_alu instid0(VALU_DEP_1) | instskip(NEXT) | instid1(VALU_DEP_1)
	v_fmac_f32_e32 v27, 0xbee1c552, v0
	v_dual_sub_f32 v7, v10, v27 :: v_dual_fmac_f32 v32, 0xbee1c552, v0
	v_add_f32_e32 v0, v16, v31
	v_fmac_f32_e32 v24, 0xbee1c552, v6
	v_add_f32_e32 v9, v27, v10
	v_add_f32_e32 v27, v29, v15
	v_dual_sub_f32 v15, v15, v29 :: v_dual_fmac_f32 v14, 0xbee1c552, v6
	s_delay_alu instid0(VALU_DEP_4)
	v_add_f32_e32 v8, v24, v13
	v_sub_f32_e32 v10, v13, v24
	v_sub_f32_e32 v13, v33, v22
	v_add_f32_e32 v22, v17, v19
	v_sub_f32_e32 v17, v17, v19
	v_add_f32_e32 v19, v20, v30
	v_add_f32_e32 v24, v21, v26
	v_fmac_f32_e32 v12, 0xbee1c552, v6
	v_dual_sub_f32 v20, v20, v30 :: v_dual_sub_f32 v21, v26, v21
	s_delay_alu instid0(VALU_DEP_4)
	v_add_f32_e32 v26, v19, v0
	v_sub_f32_e32 v29, v19, v0
	v_sub_f32_e32 v0, v0, v24
	v_dual_sub_f32 v4, v34, v14 :: v_dual_sub_f32 v19, v24, v19
	v_add_f32_e32 v5, v32, v11
	v_sub_f32_e32 v11, v11, v32
	s_delay_alu instid0(VALU_DEP_4)
	v_mul_f32_e32 v0, 0x3f4a47b2, v0
	v_sub_f32_e32 v16, v16, v31
	v_sub_f32_e32 v6, v23, v12
	v_dual_add_f32 v31, v21, v20 :: v_dual_add_f32 v12, v12, v23
	v_add_f32_e32 v23, v28, v18
	v_sub_f32_e32 v18, v28, v18
	v_dual_add_f32 v14, v14, v34 :: v_dual_sub_f32 v35, v17, v15
	v_dual_sub_f32 v33, v21, v20 :: v_dual_add_f32 v24, v24, v26
	s_delay_alu instid0(VALU_DEP_3) | instskip(SKIP_2) | instid1(VALU_DEP_4)
	v_add_f32_e32 v32, v15, v18
	v_sub_f32_e32 v34, v15, v18
	v_sub_f32_e32 v18, v18, v17
	v_add_f32_e32 v15, v54, v24
	s_delay_alu instid0(VALU_DEP_4) | instskip(NEXT) | instid1(VALU_DEP_4)
	v_add_f32_e32 v17, v32, v17
	v_dual_mul_f32 v32, 0x3f08b237, v33 :: v_dual_mul_f32 v33, 0x3f08b237, v34
	v_add_f32_e32 v28, v23, v22
	s_delay_alu instid0(VALU_DEP_4) | instskip(SKIP_1) | instid1(VALU_DEP_3)
	v_fmamk_f32 v24, v24, 0xbf955555, v15
	v_mul_f32_e32 v36, 0xbf5ff5aa, v18
	v_add_f32_e32 v26, v27, v28
	v_dual_mul_f32 v28, 0x3d64c772, v19 :: v_dual_fmamk_f32 v19, v19, 0x3d64c772, v0
	v_sub_f32_e32 v21, v16, v21
	v_fma_f32 v0, 0xbf3bfb3b, v29, -v0
	s_delay_alu instid0(VALU_DEP_3)
	v_fma_f32 v28, 0x3f3bfb3b, v29, -v28
	v_sub_f32_e32 v30, v23, v22
	v_sub_f32_e32 v22, v22, v27
	;; [unrolled: 1-line block ×3, first 2 shown]
	v_add_f32_e32 v27, v31, v16
	v_dual_fmamk_f32 v29, v21, 0xbeae86e6, v32 :: v_dual_add_f32 v0, v0, v24
	s_delay_alu instid0(VALU_DEP_3) | instskip(NEXT) | instid1(VALU_DEP_2)
	v_dual_mul_f32 v31, 0x3d64c772, v23 :: v_dual_sub_f32 v20, v20, v16
	v_dual_add_f32 v16, v55, v26 :: v_dual_fmac_f32 v29, 0xbee1c552, v27
	v_mul_f32_e32 v22, 0x3f4a47b2, v22
	s_delay_alu instid0(VALU_DEP_2) | instskip(NEXT) | instid1(VALU_DEP_2)
	v_fmamk_f32 v26, v26, 0xbf955555, v16
	v_fmamk_f32 v23, v23, 0x3d64c772, v22
	s_delay_alu instid0(VALU_DEP_1)
	v_add_f32_e32 v37, v23, v26
	v_add_f32_e32 v23, v28, v24
	v_fma_f32 v31, 0x3f3bfb3b, v30, -v31
	v_fma_f32 v22, 0xbf3bfb3b, v30, -v22
	v_fmamk_f32 v30, v35, 0xbeae86e6, v33
	v_fma_f32 v35, 0x3eae86e6, v35, -v36
	v_fma_f32 v33, 0xbf5ff5aa, v18, -v33
	v_add_f32_e32 v28, v31, v26
	v_dual_add_f32 v31, v22, v26 :: v_dual_mul_f32 v34, 0xbf5ff5aa, v20
	v_fma_f32 v32, 0xbf5ff5aa, v20, -v32
	v_dual_fmac_f32 v35, 0xbee1c552, v17 :: v_dual_add_f32 v36, v19, v24
	v_fmac_f32_e32 v30, 0xbee1c552, v17
	s_delay_alu instid0(VALU_DEP_4) | instskip(NEXT) | instid1(VALU_DEP_4)
	v_fma_f32 v34, 0x3eae86e6, v21, -v34
	v_dual_fmac_f32 v32, 0xbee1c552, v27 :: v_dual_fmac_f32 v33, 0xbee1c552, v17
	s_delay_alu instid0(VALU_DEP_4) | instskip(NEXT) | instid1(VALU_DEP_3)
	v_dual_add_f32 v19, v35, v0 :: v_dual_sub_f32 v26, v0, v35
	v_fmac_f32_e32 v34, 0xbee1c552, v27
	v_add_nc_u32_e32 v0, 0x800, v121
	v_sub_f32_e32 v18, v37, v29
	v_sub_f32_e32 v21, v23, v33
	s_delay_alu instid0(VALU_DEP_4)
	v_dual_add_f32 v23, v33, v23 :: v_dual_sub_f32 v20, v31, v34
	v_add_f32_e32 v27, v34, v31
	v_add_nc_u32_e32 v31, 0x1400, v121
	ds_store_b64 v121, v[1:2]
	ds_store_2addr_b64 v0, v[5:6], v[7:8] offset0:84 offset1:254
	ds_store_2addr_b64 v31, v[9:10], v[11:12] offset0:40 offset1:210
	v_add_nc_u32_e32 v1, 0x400, v25
	v_dual_add_f32 v17, v30, v36 :: v_dual_add_nc_u32 v2, 0xe00, v25
	v_dual_add_f32 v22, v32, v28 :: v_dual_add_nc_u32 v5, 0x1800, v25
	v_sub_f32_e32 v24, v28, v32
	v_dual_sub_f32 v28, v36, v30 :: v_dual_add_f32 v29, v29, v37
	ds_store_b64 v121, v[13:14] offset:8160
	ds_store_2addr_b64 v121, v[15:16], v[3:4] offset0:85 offset1:170
	ds_store_2addr_b64 v1, v[17:18], v[19:20] offset0:42 offset1:212
	;; [unrolled: 1-line block ×4, first 2 shown]
	global_wb scope:SCOPE_SE
	s_wait_dscnt 0x0
	s_barrier_signal -1
	s_barrier_wait -1
	global_inv scope:SCOPE_SE
	s_and_b32 exec_lo, exec_lo, vcc_lo
	s_cbranch_execz .LBB0_23
; %bb.22:
	global_load_b64 v[1:2], v115, s[8:9]
	ds_load_b64 v[3:4], v121
	v_mad_co_u64_u32 v[7:8], null, s4, v116, 0
	s_mov_b32 s0, 0x1b89401c
	s_mov_b32 s1, 0x3f4b8940
	s_mul_u64 s[2:3], s[4:5], 0x230
	s_wait_loadcnt_dscnt 0x0
	v_mul_f32_e32 v5, v4, v2
	v_mul_f32_e32 v2, v3, v2
	s_delay_alu instid0(VALU_DEP_2) | instskip(NEXT) | instid1(VALU_DEP_2)
	v_fmac_f32_e32 v5, v3, v1
	v_fma_f32 v3, v1, v4, -v2
	s_delay_alu instid0(VALU_DEP_2) | instskip(NEXT) | instid1(VALU_DEP_2)
	v_cvt_f64_f32_e32 v[1:2], v5
	v_cvt_f64_f32_e32 v[3:4], v3
	v_mad_co_u64_u32 v[5:6], null, s6, v80, 0
	s_wait_alu 0xfffe
	s_delay_alu instid0(VALU_DEP_3) | instskip(NEXT) | instid1(VALU_DEP_3)
	v_mul_f64_e32 v[1:2], s[0:1], v[1:2]
	v_mul_f64_e32 v[3:4], s[0:1], v[3:4]
	s_delay_alu instid0(VALU_DEP_2) | instskip(NEXT) | instid1(VALU_DEP_2)
	v_cvt_f32_f64_e32 v1, v[1:2]
	v_cvt_f32_f64_e32 v2, v[3:4]
	v_dual_mov_b32 v4, v8 :: v_dual_mov_b32 v3, v6
	s_delay_alu instid0(VALU_DEP_1) | instskip(SKIP_1) | instid1(VALU_DEP_2)
	v_mad_co_u64_u32 v[8:9], null, s7, v80, v[3:4]
	v_mad_co_u64_u32 v[3:4], null, s5, v116, v[4:5]
	v_mov_b32_e32 v6, v8
	s_delay_alu instid0(VALU_DEP_2) | instskip(NEXT) | instid1(VALU_DEP_2)
	v_mov_b32_e32 v8, v3
	v_lshlrev_b64_e32 v[3:4], 3, v[5:6]
	s_delay_alu instid0(VALU_DEP_2) | instskip(NEXT) | instid1(VALU_DEP_2)
	v_lshlrev_b64_e32 v[5:6], 3, v[7:8]
	v_add_co_u32 v3, vcc_lo, s12, v3
	s_delay_alu instid0(VALU_DEP_3) | instskip(NEXT) | instid1(VALU_DEP_2)
	v_add_co_ci_u32_e32 v4, vcc_lo, s13, v4, vcc_lo
	v_add_co_u32 v5, vcc_lo, v3, v5
	s_wait_alu 0xfffd
	s_delay_alu instid0(VALU_DEP_2)
	v_add_co_ci_u32_e32 v6, vcc_lo, v4, v6, vcc_lo
	global_store_b64 v[5:6], v[1:2], off
	global_load_b64 v[7:8], v115, s[8:9] offset:560
	ds_load_2addr_b64 v[1:4], v121 offset0:70 offset1:140
	v_add_co_u32 v5, vcc_lo, v5, s2
	s_wait_alu 0xfffd
	v_add_co_ci_u32_e32 v6, vcc_lo, s3, v6, vcc_lo
	s_wait_loadcnt_dscnt 0x0
	v_mul_f32_e32 v9, v2, v8
	v_mul_f32_e32 v8, v1, v8
	s_delay_alu instid0(VALU_DEP_2) | instskip(NEXT) | instid1(VALU_DEP_2)
	v_fmac_f32_e32 v9, v1, v7
	v_fma_f32 v7, v7, v2, -v8
	s_delay_alu instid0(VALU_DEP_2) | instskip(NEXT) | instid1(VALU_DEP_2)
	v_cvt_f64_f32_e32 v[1:2], v9
	v_cvt_f64_f32_e32 v[7:8], v7
	s_delay_alu instid0(VALU_DEP_2) | instskip(NEXT) | instid1(VALU_DEP_2)
	v_mul_f64_e32 v[1:2], s[0:1], v[1:2]
	v_mul_f64_e32 v[7:8], s[0:1], v[7:8]
	s_delay_alu instid0(VALU_DEP_2) | instskip(NEXT) | instid1(VALU_DEP_2)
	v_cvt_f32_f64_e32 v1, v[1:2]
	v_cvt_f32_f64_e32 v2, v[7:8]
	global_store_b64 v[5:6], v[1:2], off
	global_load_b64 v[1:2], v115, s[8:9] offset:1120
	v_add_co_u32 v5, vcc_lo, v5, s2
	s_wait_alu 0xfffd
	v_add_co_ci_u32_e32 v6, vcc_lo, s3, v6, vcc_lo
	s_wait_loadcnt 0x0
	v_mul_f32_e32 v7, v4, v2
	v_mul_f32_e32 v2, v3, v2
	s_delay_alu instid0(VALU_DEP_2) | instskip(NEXT) | instid1(VALU_DEP_2)
	v_fmac_f32_e32 v7, v3, v1
	v_fma_f32 v3, v1, v4, -v2
	s_delay_alu instid0(VALU_DEP_2) | instskip(NEXT) | instid1(VALU_DEP_2)
	v_cvt_f64_f32_e32 v[1:2], v7
	v_cvt_f64_f32_e32 v[3:4], v3
	s_delay_alu instid0(VALU_DEP_2) | instskip(NEXT) | instid1(VALU_DEP_2)
	v_mul_f64_e32 v[1:2], s[0:1], v[1:2]
	v_mul_f64_e32 v[3:4], s[0:1], v[3:4]
	s_delay_alu instid0(VALU_DEP_2) | instskip(NEXT) | instid1(VALU_DEP_2)
	v_cvt_f32_f64_e32 v1, v[1:2]
	v_cvt_f32_f64_e32 v2, v[3:4]
	global_store_b64 v[5:6], v[1:2], off
	global_load_b64 v[7:8], v115, s[8:9] offset:1680
	v_add_nc_u32_e32 v1, 0x400, v121
	v_add_co_u32 v5, vcc_lo, v5, s2
	s_wait_alu 0xfffd
	v_add_co_ci_u32_e32 v6, vcc_lo, s3, v6, vcc_lo
	ds_load_2addr_b64 v[1:4], v1 offset0:82 offset1:152
	s_wait_loadcnt_dscnt 0x0
	v_mul_f32_e32 v9, v2, v8
	v_mul_f32_e32 v8, v1, v8
	s_delay_alu instid0(VALU_DEP_2) | instskip(NEXT) | instid1(VALU_DEP_2)
	v_fmac_f32_e32 v9, v1, v7
	v_fma_f32 v7, v7, v2, -v8
	s_delay_alu instid0(VALU_DEP_2) | instskip(NEXT) | instid1(VALU_DEP_2)
	v_cvt_f64_f32_e32 v[1:2], v9
	v_cvt_f64_f32_e32 v[7:8], v7
	s_delay_alu instid0(VALU_DEP_2) | instskip(NEXT) | instid1(VALU_DEP_2)
	v_mul_f64_e32 v[1:2], s[0:1], v[1:2]
	v_mul_f64_e32 v[7:8], s[0:1], v[7:8]
	s_delay_alu instid0(VALU_DEP_2) | instskip(NEXT) | instid1(VALU_DEP_2)
	v_cvt_f32_f64_e32 v1, v[1:2]
	v_cvt_f32_f64_e32 v2, v[7:8]
	global_store_b64 v[5:6], v[1:2], off
	global_load_b64 v[1:2], v115, s[8:9] offset:2240
	s_wait_loadcnt 0x0
	v_mul_f32_e32 v7, v4, v2
	v_mul_f32_e32 v2, v3, v2
	s_delay_alu instid0(VALU_DEP_2) | instskip(NEXT) | instid1(VALU_DEP_2)
	v_fmac_f32_e32 v7, v3, v1
	v_fma_f32 v3, v1, v4, -v2
	s_delay_alu instid0(VALU_DEP_2) | instskip(NEXT) | instid1(VALU_DEP_2)
	v_cvt_f64_f32_e32 v[1:2], v7
	v_cvt_f64_f32_e32 v[3:4], v3
	s_delay_alu instid0(VALU_DEP_2) | instskip(NEXT) | instid1(VALU_DEP_2)
	v_mul_f64_e32 v[1:2], s[0:1], v[1:2]
	v_mul_f64_e32 v[3:4], s[0:1], v[3:4]
	s_delay_alu instid0(VALU_DEP_2) | instskip(NEXT) | instid1(VALU_DEP_2)
	v_cvt_f32_f64_e32 v1, v[1:2]
	v_cvt_f32_f64_e32 v2, v[3:4]
	v_add_co_u32 v4, vcc_lo, v5, s2
	s_wait_alu 0xfffd
	v_add_co_ci_u32_e32 v5, vcc_lo, s3, v6, vcc_lo
	global_store_b64 v[4:5], v[1:2], off
	global_load_b64 v[6:7], v115, s[8:9] offset:2800
	ds_load_2addr_b64 v[0:3], v0 offset0:94 offset1:164
	v_add_co_u32 v4, vcc_lo, v4, s2
	s_wait_alu 0xfffd
	v_add_co_ci_u32_e32 v5, vcc_lo, s3, v5, vcc_lo
	s_wait_loadcnt_dscnt 0x0
	v_mul_f32_e32 v8, v1, v7
	v_mul_f32_e32 v7, v0, v7
	s_delay_alu instid0(VALU_DEP_2) | instskip(NEXT) | instid1(VALU_DEP_2)
	v_fmac_f32_e32 v8, v0, v6
	v_fma_f32 v6, v6, v1, -v7
	s_delay_alu instid0(VALU_DEP_2) | instskip(NEXT) | instid1(VALU_DEP_2)
	v_cvt_f64_f32_e32 v[0:1], v8
	v_cvt_f64_f32_e32 v[6:7], v6
	s_delay_alu instid0(VALU_DEP_2) | instskip(NEXT) | instid1(VALU_DEP_2)
	v_mul_f64_e32 v[0:1], s[0:1], v[0:1]
	v_mul_f64_e32 v[6:7], s[0:1], v[6:7]
	s_delay_alu instid0(VALU_DEP_2) | instskip(NEXT) | instid1(VALU_DEP_2)
	v_cvt_f32_f64_e32 v0, v[0:1]
	v_cvt_f32_f64_e32 v1, v[6:7]
	global_store_b64 v[4:5], v[0:1], off
	global_load_b64 v[0:1], v115, s[8:9] offset:3360
	v_add_co_u32 v4, vcc_lo, v4, s2
	s_wait_alu 0xfffd
	v_add_co_ci_u32_e32 v5, vcc_lo, s3, v5, vcc_lo
	s_wait_loadcnt 0x0
	v_mul_f32_e32 v6, v3, v1
	v_mul_f32_e32 v1, v2, v1
	s_delay_alu instid0(VALU_DEP_2) | instskip(NEXT) | instid1(VALU_DEP_2)
	v_fmac_f32_e32 v6, v2, v0
	v_fma_f32 v2, v0, v3, -v1
	s_delay_alu instid0(VALU_DEP_2) | instskip(NEXT) | instid1(VALU_DEP_2)
	v_cvt_f64_f32_e32 v[0:1], v6
	v_cvt_f64_f32_e32 v[2:3], v2
	s_delay_alu instid0(VALU_DEP_2) | instskip(NEXT) | instid1(VALU_DEP_2)
	v_mul_f64_e32 v[0:1], s[0:1], v[0:1]
	v_mul_f64_e32 v[2:3], s[0:1], v[2:3]
	s_delay_alu instid0(VALU_DEP_2) | instskip(NEXT) | instid1(VALU_DEP_2)
	v_cvt_f32_f64_e32 v0, v[0:1]
	v_cvt_f32_f64_e32 v1, v[2:3]
	global_store_b64 v[4:5], v[0:1], off
	global_load_b64 v[6:7], v115, s[8:9] offset:3920
	v_add_nc_u32_e32 v0, 0xc00, v121
	v_add_co_u32 v4, vcc_lo, v4, s2
	s_wait_alu 0xfffd
	v_add_co_ci_u32_e32 v5, vcc_lo, s3, v5, vcc_lo
	ds_load_2addr_b64 v[0:3], v0 offset0:106 offset1:176
	s_wait_loadcnt_dscnt 0x0
	v_mul_f32_e32 v8, v1, v7
	v_mul_f32_e32 v7, v0, v7
	s_delay_alu instid0(VALU_DEP_2) | instskip(NEXT) | instid1(VALU_DEP_2)
	v_fmac_f32_e32 v8, v0, v6
	v_fma_f32 v6, v6, v1, -v7
	s_delay_alu instid0(VALU_DEP_2) | instskip(NEXT) | instid1(VALU_DEP_2)
	v_cvt_f64_f32_e32 v[0:1], v8
	v_cvt_f64_f32_e32 v[6:7], v6
	s_delay_alu instid0(VALU_DEP_2) | instskip(NEXT) | instid1(VALU_DEP_2)
	v_mul_f64_e32 v[0:1], s[0:1], v[0:1]
	v_mul_f64_e32 v[6:7], s[0:1], v[6:7]
	s_delay_alu instid0(VALU_DEP_2) | instskip(NEXT) | instid1(VALU_DEP_2)
	v_cvt_f32_f64_e32 v0, v[0:1]
	v_cvt_f32_f64_e32 v1, v[6:7]
	global_store_b64 v[4:5], v[0:1], off
	global_load_b64 v[0:1], v115, s[8:9] offset:4480
	v_add_co_u32 v4, vcc_lo, v4, s2
	s_wait_alu 0xfffd
	v_add_co_ci_u32_e32 v5, vcc_lo, s3, v5, vcc_lo
	s_wait_loadcnt 0x0
	v_mul_f32_e32 v6, v3, v1
	v_mul_f32_e32 v1, v2, v1
	s_delay_alu instid0(VALU_DEP_2) | instskip(NEXT) | instid1(VALU_DEP_2)
	v_fmac_f32_e32 v6, v2, v0
	v_fma_f32 v2, v0, v3, -v1
	s_delay_alu instid0(VALU_DEP_2) | instskip(NEXT) | instid1(VALU_DEP_2)
	v_cvt_f64_f32_e32 v[0:1], v6
	v_cvt_f64_f32_e32 v[2:3], v2
	s_delay_alu instid0(VALU_DEP_2) | instskip(NEXT) | instid1(VALU_DEP_2)
	v_mul_f64_e32 v[0:1], s[0:1], v[0:1]
	v_mul_f64_e32 v[2:3], s[0:1], v[2:3]
	s_delay_alu instid0(VALU_DEP_2) | instskip(NEXT) | instid1(VALU_DEP_2)
	v_cvt_f32_f64_e32 v0, v[0:1]
	v_cvt_f32_f64_e32 v1, v[2:3]
	global_store_b64 v[4:5], v[0:1], off
	global_load_b64 v[6:7], v115, s[8:9] offset:5040
	v_add_nc_u32_e32 v0, 0x1000, v121
	v_add_co_u32 v4, vcc_lo, v4, s2
	s_wait_alu 0xfffd
	v_add_co_ci_u32_e32 v5, vcc_lo, s3, v5, vcc_lo
	ds_load_2addr_b64 v[0:3], v0 offset0:118 offset1:188
	;; [unrolled: 42-line block ×3, first 2 shown]
	s_wait_loadcnt_dscnt 0x0
	v_mul_f32_e32 v9, v1, v7
	v_mul_f32_e32 v7, v0, v7
	s_delay_alu instid0(VALU_DEP_2) | instskip(NEXT) | instid1(VALU_DEP_2)
	v_fmac_f32_e32 v9, v0, v6
	v_fma_f32 v6, v6, v1, -v7
	s_delay_alu instid0(VALU_DEP_2) | instskip(NEXT) | instid1(VALU_DEP_2)
	v_cvt_f64_f32_e32 v[0:1], v9
	v_cvt_f64_f32_e32 v[6:7], v6
	s_delay_alu instid0(VALU_DEP_2) | instskip(NEXT) | instid1(VALU_DEP_2)
	v_mul_f64_e32 v[0:1], s[0:1], v[0:1]
	v_mul_f64_e32 v[6:7], s[0:1], v[6:7]
	s_delay_alu instid0(VALU_DEP_2) | instskip(NEXT) | instid1(VALU_DEP_2)
	v_cvt_f32_f64_e32 v0, v[0:1]
	v_cvt_f32_f64_e32 v1, v[6:7]
	global_store_b64 v[4:5], v[0:1], off
	global_load_b64 v[0:1], v115, s[8:9] offset:6720
	v_add_co_u32 v4, vcc_lo, v4, s2
	s_wait_alu 0xfffd
	v_add_co_ci_u32_e32 v5, vcc_lo, s3, v5, vcc_lo
	s_wait_loadcnt 0x0
	v_mul_f32_e32 v6, v3, v1
	v_mul_f32_e32 v1, v2, v1
	s_delay_alu instid0(VALU_DEP_2) | instskip(NEXT) | instid1(VALU_DEP_2)
	v_fmac_f32_e32 v6, v2, v0
	v_fma_f32 v2, v0, v3, -v1
	s_delay_alu instid0(VALU_DEP_2) | instskip(NEXT) | instid1(VALU_DEP_2)
	v_cvt_f64_f32_e32 v[0:1], v6
	v_cvt_f64_f32_e32 v[2:3], v2
	s_delay_alu instid0(VALU_DEP_2) | instskip(NEXT) | instid1(VALU_DEP_2)
	v_mul_f64_e32 v[0:1], s[0:1], v[0:1]
	v_mul_f64_e32 v[2:3], s[0:1], v[2:3]
	s_delay_alu instid0(VALU_DEP_2) | instskip(NEXT) | instid1(VALU_DEP_2)
	v_cvt_f32_f64_e32 v0, v[0:1]
	v_cvt_f32_f64_e32 v1, v[2:3]
	global_store_b64 v[4:5], v[0:1], off
	global_load_b64 v[6:7], v115, s[8:9] offset:7280
	ds_load_2addr_b64 v[0:3], v8 offset0:142 offset1:212
	v_add_co_u32 v4, vcc_lo, v4, s2
	s_wait_alu 0xfffd
	v_add_co_ci_u32_e32 v5, vcc_lo, s3, v5, vcc_lo
	s_wait_loadcnt_dscnt 0x0
	v_mul_f32_e32 v8, v1, v7
	v_mul_f32_e32 v7, v0, v7
	s_delay_alu instid0(VALU_DEP_2) | instskip(NEXT) | instid1(VALU_DEP_2)
	v_fmac_f32_e32 v8, v0, v6
	v_fma_f32 v6, v6, v1, -v7
	s_delay_alu instid0(VALU_DEP_2) | instskip(NEXT) | instid1(VALU_DEP_2)
	v_cvt_f64_f32_e32 v[0:1], v8
	v_cvt_f64_f32_e32 v[6:7], v6
	s_delay_alu instid0(VALU_DEP_2) | instskip(NEXT) | instid1(VALU_DEP_2)
	v_mul_f64_e32 v[0:1], s[0:1], v[0:1]
	v_mul_f64_e32 v[6:7], s[0:1], v[6:7]
	s_delay_alu instid0(VALU_DEP_2) | instskip(NEXT) | instid1(VALU_DEP_2)
	v_cvt_f32_f64_e32 v0, v[0:1]
	v_cvt_f32_f64_e32 v1, v[6:7]
	global_store_b64 v[4:5], v[0:1], off
	global_load_b64 v[0:1], v115, s[8:9] offset:7840
	v_add_co_u32 v4, vcc_lo, v4, s2
	s_wait_alu 0xfffd
	v_add_co_ci_u32_e32 v5, vcc_lo, s3, v5, vcc_lo
	s_wait_loadcnt 0x0
	v_mul_f32_e32 v6, v3, v1
	v_mul_f32_e32 v1, v2, v1
	s_delay_alu instid0(VALU_DEP_2) | instskip(NEXT) | instid1(VALU_DEP_2)
	v_fmac_f32_e32 v6, v2, v0
	v_fma_f32 v2, v0, v3, -v1
	s_delay_alu instid0(VALU_DEP_2) | instskip(NEXT) | instid1(VALU_DEP_2)
	v_cvt_f64_f32_e32 v[0:1], v6
	v_cvt_f64_f32_e32 v[2:3], v2
	s_delay_alu instid0(VALU_DEP_2) | instskip(NEXT) | instid1(VALU_DEP_2)
	v_mul_f64_e32 v[0:1], s[0:1], v[0:1]
	v_mul_f64_e32 v[2:3], s[0:1], v[2:3]
	s_delay_alu instid0(VALU_DEP_2) | instskip(NEXT) | instid1(VALU_DEP_2)
	v_cvt_f32_f64_e32 v0, v[0:1]
	v_cvt_f32_f64_e32 v1, v[2:3]
	global_store_b64 v[4:5], v[0:1], off
	global_load_b64 v[6:7], v115, s[8:9] offset:8400
	v_add_nc_u32_e32 v0, 0x2000, v121
	v_add_co_u32 v4, vcc_lo, v4, s2
	s_wait_alu 0xfffd
	v_add_co_ci_u32_e32 v5, vcc_lo, s3, v5, vcc_lo
	ds_load_2addr_b64 v[0:3], v0 offset0:26 offset1:96
	s_wait_loadcnt_dscnt 0x0
	v_mul_f32_e32 v8, v1, v7
	v_mul_f32_e32 v7, v0, v7
	s_delay_alu instid0(VALU_DEP_2) | instskip(NEXT) | instid1(VALU_DEP_2)
	v_fmac_f32_e32 v8, v0, v6
	v_fma_f32 v6, v6, v1, -v7
	s_delay_alu instid0(VALU_DEP_2) | instskip(NEXT) | instid1(VALU_DEP_2)
	v_cvt_f64_f32_e32 v[0:1], v8
	v_cvt_f64_f32_e32 v[6:7], v6
	s_delay_alu instid0(VALU_DEP_2) | instskip(NEXT) | instid1(VALU_DEP_2)
	v_mul_f64_e32 v[0:1], s[0:1], v[0:1]
	v_mul_f64_e32 v[6:7], s[0:1], v[6:7]
	s_delay_alu instid0(VALU_DEP_2) | instskip(NEXT) | instid1(VALU_DEP_2)
	v_cvt_f32_f64_e32 v0, v[0:1]
	v_cvt_f32_f64_e32 v1, v[6:7]
	global_store_b64 v[4:5], v[0:1], off
	global_load_b64 v[0:1], v115, s[8:9] offset:8960
	s_wait_loadcnt 0x0
	v_mul_f32_e32 v6, v3, v1
	v_mul_f32_e32 v1, v2, v1
	s_delay_alu instid0(VALU_DEP_2) | instskip(NEXT) | instid1(VALU_DEP_2)
	v_fmac_f32_e32 v6, v2, v0
	v_fma_f32 v2, v0, v3, -v1
	s_delay_alu instid0(VALU_DEP_2) | instskip(NEXT) | instid1(VALU_DEP_2)
	v_cvt_f64_f32_e32 v[0:1], v6
	v_cvt_f64_f32_e32 v[2:3], v2
	s_delay_alu instid0(VALU_DEP_2) | instskip(NEXT) | instid1(VALU_DEP_2)
	v_mul_f64_e32 v[0:1], s[0:1], v[0:1]
	v_mul_f64_e32 v[2:3], s[0:1], v[2:3]
	s_delay_alu instid0(VALU_DEP_2) | instskip(NEXT) | instid1(VALU_DEP_2)
	v_cvt_f32_f64_e32 v0, v[0:1]
	v_cvt_f32_f64_e32 v1, v[2:3]
	v_add_co_u32 v2, vcc_lo, v4, s2
	s_wait_alu 0xfffd
	v_add_co_ci_u32_e32 v3, vcc_lo, s3, v5, vcc_lo
	global_store_b64 v[2:3], v[0:1], off
.LBB0_23:
	s_nop 0
	s_sendmsg sendmsg(MSG_DEALLOC_VGPRS)
	s_endpgm
	.section	.rodata,"a",@progbits
	.p2align	6, 0x0
	.amdhsa_kernel bluestein_single_fwd_len1190_dim1_sp_op_CI_CI
		.amdhsa_group_segment_fixed_size 28560
		.amdhsa_private_segment_fixed_size 0
		.amdhsa_kernarg_size 104
		.amdhsa_user_sgpr_count 2
		.amdhsa_user_sgpr_dispatch_ptr 0
		.amdhsa_user_sgpr_queue_ptr 0
		.amdhsa_user_sgpr_kernarg_segment_ptr 1
		.amdhsa_user_sgpr_dispatch_id 0
		.amdhsa_user_sgpr_private_segment_size 0
		.amdhsa_wavefront_size32 1
		.amdhsa_uses_dynamic_stack 0
		.amdhsa_enable_private_segment 0
		.amdhsa_system_sgpr_workgroup_id_x 1
		.amdhsa_system_sgpr_workgroup_id_y 0
		.amdhsa_system_sgpr_workgroup_id_z 0
		.amdhsa_system_sgpr_workgroup_info 0
		.amdhsa_system_vgpr_workitem_id 0
		.amdhsa_next_free_vgpr 251
		.amdhsa_next_free_sgpr 14
		.amdhsa_reserve_vcc 1
		.amdhsa_float_round_mode_32 0
		.amdhsa_float_round_mode_16_64 0
		.amdhsa_float_denorm_mode_32 3
		.amdhsa_float_denorm_mode_16_64 3
		.amdhsa_fp16_overflow 0
		.amdhsa_workgroup_processor_mode 1
		.amdhsa_memory_ordered 1
		.amdhsa_forward_progress 0
		.amdhsa_round_robin_scheduling 0
		.amdhsa_exception_fp_ieee_invalid_op 0
		.amdhsa_exception_fp_denorm_src 0
		.amdhsa_exception_fp_ieee_div_zero 0
		.amdhsa_exception_fp_ieee_overflow 0
		.amdhsa_exception_fp_ieee_underflow 0
		.amdhsa_exception_fp_ieee_inexact 0
		.amdhsa_exception_int_div_zero 0
	.end_amdhsa_kernel
	.text
.Lfunc_end0:
	.size	bluestein_single_fwd_len1190_dim1_sp_op_CI_CI, .Lfunc_end0-bluestein_single_fwd_len1190_dim1_sp_op_CI_CI
                                        ; -- End function
	.section	.AMDGPU.csdata,"",@progbits
; Kernel info:
; codeLenInByte = 23972
; NumSgprs: 16
; NumVgprs: 251
; ScratchSize: 0
; MemoryBound: 0
; FloatMode: 240
; IeeeMode: 1
; LDSByteSize: 28560 bytes/workgroup (compile time only)
; SGPRBlocks: 1
; VGPRBlocks: 31
; NumSGPRsForWavesPerEU: 16
; NumVGPRsForWavesPerEU: 251
; Occupancy: 5
; WaveLimiterHint : 1
; COMPUTE_PGM_RSRC2:SCRATCH_EN: 0
; COMPUTE_PGM_RSRC2:USER_SGPR: 2
; COMPUTE_PGM_RSRC2:TRAP_HANDLER: 0
; COMPUTE_PGM_RSRC2:TGID_X_EN: 1
; COMPUTE_PGM_RSRC2:TGID_Y_EN: 0
; COMPUTE_PGM_RSRC2:TGID_Z_EN: 0
; COMPUTE_PGM_RSRC2:TIDIG_COMP_CNT: 0
	.text
	.p2alignl 7, 3214868480
	.fill 96, 4, 3214868480
	.type	__hip_cuid_1b68ceedbd03939b,@object ; @__hip_cuid_1b68ceedbd03939b
	.section	.bss,"aw",@nobits
	.globl	__hip_cuid_1b68ceedbd03939b
__hip_cuid_1b68ceedbd03939b:
	.byte	0                               ; 0x0
	.size	__hip_cuid_1b68ceedbd03939b, 1

	.ident	"AMD clang version 19.0.0git (https://github.com/RadeonOpenCompute/llvm-project roc-6.4.0 25133 c7fe45cf4b819c5991fe208aaa96edf142730f1d)"
	.section	".note.GNU-stack","",@progbits
	.addrsig
	.addrsig_sym __hip_cuid_1b68ceedbd03939b
	.amdgpu_metadata
---
amdhsa.kernels:
  - .args:
      - .actual_access:  read_only
        .address_space:  global
        .offset:         0
        .size:           8
        .value_kind:     global_buffer
      - .actual_access:  read_only
        .address_space:  global
        .offset:         8
        .size:           8
        .value_kind:     global_buffer
      - .actual_access:  read_only
        .address_space:  global
        .offset:         16
        .size:           8
        .value_kind:     global_buffer
      - .actual_access:  read_only
        .address_space:  global
        .offset:         24
        .size:           8
        .value_kind:     global_buffer
      - .actual_access:  read_only
        .address_space:  global
        .offset:         32
        .size:           8
        .value_kind:     global_buffer
      - .offset:         40
        .size:           8
        .value_kind:     by_value
      - .address_space:  global
        .offset:         48
        .size:           8
        .value_kind:     global_buffer
      - .address_space:  global
        .offset:         56
        .size:           8
        .value_kind:     global_buffer
      - .address_space:  global
        .offset:         64
        .size:           8
        .value_kind:     global_buffer
      - .address_space:  global
        .offset:         72
        .size:           8
        .value_kind:     global_buffer
      - .offset:         80
        .size:           4
        .value_kind:     by_value
      - .address_space:  global
        .offset:         88
        .size:           8
        .value_kind:     global_buffer
      - .address_space:  global
        .offset:         96
        .size:           8
        .value_kind:     global_buffer
    .group_segment_fixed_size: 28560
    .kernarg_segment_align: 8
    .kernarg_segment_size: 104
    .language:       OpenCL C
    .language_version:
      - 2
      - 0
    .max_flat_workgroup_size: 255
    .name:           bluestein_single_fwd_len1190_dim1_sp_op_CI_CI
    .private_segment_fixed_size: 0
    .sgpr_count:     16
    .sgpr_spill_count: 0
    .symbol:         bluestein_single_fwd_len1190_dim1_sp_op_CI_CI.kd
    .uniform_work_group_size: 1
    .uses_dynamic_stack: false
    .vgpr_count:     251
    .vgpr_spill_count: 0
    .wavefront_size: 32
    .workgroup_processor_mode: 1
amdhsa.target:   amdgcn-amd-amdhsa--gfx1201
amdhsa.version:
  - 1
  - 2
...

	.end_amdgpu_metadata
